;; amdgpu-corpus repo=ROCm/rocFFT kind=compiled arch=gfx1201 opt=O3
	.text
	.amdgcn_target "amdgcn-amd-amdhsa--gfx1201"
	.amdhsa_code_object_version 6
	.protected	bluestein_single_fwd_len1584_dim1_half_op_CI_CI ; -- Begin function bluestein_single_fwd_len1584_dim1_half_op_CI_CI
	.globl	bluestein_single_fwd_len1584_dim1_half_op_CI_CI
	.p2align	8
	.type	bluestein_single_fwd_len1584_dim1_half_op_CI_CI,@function
bluestein_single_fwd_len1584_dim1_half_op_CI_CI: ; @bluestein_single_fwd_len1584_dim1_half_op_CI_CI
; %bb.0:
	s_load_b128 s[8:11], s[0:1], 0x28
	v_mul_u32_u24_e32 v1, 0x175, v0
	s_mov_b32 s2, exec_lo
	v_mov_b32_e32 v13, 0
	s_delay_alu instid0(VALU_DEP_2) | instskip(NEXT) | instid1(VALU_DEP_1)
	v_lshrrev_b32_e32 v1, 16, v1
	v_add_nc_u32_e32 v12, ttmp9, v1
	s_wait_kmcnt 0x0
	s_delay_alu instid0(VALU_DEP_1)
	v_cmpx_gt_u64_e64 s[8:9], v[12:13]
	s_cbranch_execz .LBB0_39
; %bb.1:
	s_clause 0x1
	s_load_b128 s[4:7], s[0:1], 0x18
	s_load_b64 s[16:17], s[0:1], 0x0
	v_mul_lo_u16 v1, 0xb0, v1
	s_delay_alu instid0(VALU_DEP_1) | instskip(NEXT) | instid1(VALU_DEP_1)
	v_sub_nc_u16 v7, v0, v1
	v_and_b32_e32 v44, 0xffff, v7
	s_wait_kmcnt 0x0
	s_load_b128 s[12:15], s[4:5], 0x0
	s_wait_kmcnt 0x0
	v_mad_co_u64_u32 v[0:1], null, s14, v12, 0
	v_mad_co_u64_u32 v[2:3], null, s12, v44, 0
	s_mul_u64 s[2:3], s[12:13], 0x18c
	s_delay_alu instid0(VALU_DEP_1) | instskip(NEXT) | instid1(VALU_DEP_1)
	v_mad_co_u64_u32 v[4:5], null, s15, v12, v[1:2]
	v_mov_b32_e32 v1, v4
	s_delay_alu instid0(VALU_DEP_3) | instskip(SKIP_1) | instid1(VALU_DEP_3)
	v_mad_co_u64_u32 v[5:6], null, s13, v44, v[3:4]
	v_lshlrev_b32_e32 v34, 2, v44
	v_lshlrev_b64_e32 v[0:1], 2, v[0:1]
	s_delay_alu instid0(VALU_DEP_3)
	v_mov_b32_e32 v3, v5
	global_load_b32 v50, v34, s[16:17]
	v_add_co_u32 v0, vcc_lo, s10, v0
	v_add_co_ci_u32_e32 v1, vcc_lo, s11, v1, vcc_lo
	v_lshlrev_b64_e32 v[2:3], 2, v[2:3]
	s_lshl_b64 s[10:11], s[2:3], 2
	s_clause 0x6
	global_load_b32 v35, v34, s[16:17] offset:5456
	global_load_b32 v43, v34, s[16:17] offset:4752
	;; [unrolled: 1-line block ×7, first 2 shown]
	s_movk_i32 s2, 0xfc0c
	s_mov_b32 s3, -1
	v_add_co_u32 v0, vcc_lo, v0, v2
	s_wait_alu 0xfffd
	v_add_co_ci_u32_e32 v1, vcc_lo, v1, v3, vcc_lo
	s_mul_u64 s[2:3], s[12:13], s[2:3]
	s_wait_alu 0xfffe
	v_add_co_u32 v2, vcc_lo, v0, s10
	s_wait_alu 0xfffd
	v_add_co_ci_u32_e32 v3, vcc_lo, s11, v1, vcc_lo
	global_load_b32 v4, v[0:1], off
	s_lshl_b64 s[2:3], s[2:3], 2
	v_add_co_u32 v10, s12, s16, v34
	global_load_b32 v5, v[2:3], off
	v_add_co_u32 v0, vcc_lo, v2, s10
	s_wait_alu 0xfffd
	v_add_co_ci_u32_e32 v1, vcc_lo, s11, v3, vcc_lo
	s_wait_alu 0xf1ff
	v_add_co_ci_u32_e64 v11, null, s17, 0, s12
	global_load_b32 v6, v[0:1], off
	v_add_co_u32 v0, vcc_lo, v0, s10
	s_wait_alu 0xfffd
	v_add_co_ci_u32_e32 v1, vcc_lo, s11, v1, vcc_lo
	s_delay_alu instid0(VALU_DEP_2) | instskip(SKIP_1) | instid1(VALU_DEP_2)
	v_add_co_u32 v2, vcc_lo, v0, s2
	s_wait_alu 0xfffd
	v_add_co_ci_u32_e32 v3, vcc_lo, s3, v1, vcc_lo
	s_clause 0x1
	global_load_b32 v8, v[0:1], off
	global_load_b32 v9, v[2:3], off
	v_add_co_u32 v0, vcc_lo, v2, s10
	s_wait_alu 0xfffd
	v_add_co_ci_u32_e32 v1, vcc_lo, s11, v3, vcc_lo
	s_delay_alu instid0(VALU_DEP_2) | instskip(SKIP_1) | instid1(VALU_DEP_2)
	v_add_co_u32 v2, vcc_lo, v0, s10
	s_wait_alu 0xfffd
	v_add_co_ci_u32_e32 v3, vcc_lo, s11, v1, vcc_lo
	global_load_b32 v13, v[0:1], off
	v_add_co_u32 v0, vcc_lo, v2, s10
	s_wait_alu 0xfffd
	v_add_co_ci_u32_e32 v1, vcc_lo, s11, v3, vcc_lo
	global_load_b32 v2, v[2:3], off
	global_load_b32 v3, v[0:1], off
	s_load_b64 s[8:9], s[0:1], 0x38
	s_load_b128 s[4:7], s[6:7], 0x0
	v_cmp_gt_u16_e32 vcc_lo, 44, v7
	s_wait_loadcnt 0xf
	v_lshrrev_b32_e32 v51, 16, v50
	s_wait_loadcnt 0xb
	v_lshrrev_b32_e32 v47, 16, v46
	v_lshrrev_b32_e32 v45, 16, v43
	s_wait_loadcnt 0x9
	v_lshrrev_b32_e32 v49, 16, v48
	s_wait_loadcnt 0x8
	v_lshrrev_b32_e32 v42, 16, v41
	v_lshrrev_b32_e32 v40, 16, v39
	;; [unrolled: 1-line block ×4, first 2 shown]
	s_wait_loadcnt 0x7
	v_lshrrev_b32_e32 v14, 16, v4
	v_mul_f16_e32 v15, v51, v4
	s_wait_loadcnt 0x6
	v_lshrrev_b32_e32 v17, 16, v5
	s_delay_alu instid0(VALU_DEP_3) | instskip(SKIP_2) | instid1(VALU_DEP_3)
	v_mul_f16_e32 v16, v51, v14
	v_mul_f16_e32 v18, v49, v5
	v_fma_f16 v14, v50, v14, -v15
	v_fmac_f16_e32 v16, v50, v4
	v_mul_f16_e32 v4, v49, v17
	s_wait_loadcnt 0x5
	v_lshrrev_b32_e32 v15, 16, v6
	v_fma_f16 v17, v48, v17, -v18
	v_mul_f16_e32 v18, v47, v6
	v_pack_b32_f16 v14, v16, v14
	v_fmac_f16_e32 v4, v48, v5
	v_mul_f16_e32 v5, v47, v15
	s_delay_alu instid0(VALU_DEP_4) | instskip(NEXT) | instid1(VALU_DEP_3)
	v_fma_f16 v15, v46, v15, -v18
	v_pack_b32_f16 v4, v4, v17
	s_wait_loadcnt 0x4
	v_lshrrev_b32_e32 v16, 16, v8
	v_fmac_f16_e32 v5, v46, v6
	v_mul_f16_e32 v18, v45, v8
	s_wait_loadcnt 0x3
	v_lshrrev_b32_e32 v17, 16, v9
	v_mul_f16_e32 v19, v42, v9
	v_mul_f16_e32 v6, v45, v16
	v_pack_b32_f16 v5, v5, v15
	v_fma_f16 v16, v43, v16, -v18
	s_delay_alu instid0(VALU_DEP_4) | instskip(NEXT) | instid1(VALU_DEP_4)
	v_fma_f16 v15, v41, v17, -v19
	v_fmac_f16_e32 v6, v43, v8
	v_mul_f16_e32 v8, v42, v17
	s_wait_loadcnt 0x2
	v_lshrrev_b32_e32 v17, 16, v13
	v_mul_f16_e32 v18, v40, v13
	v_pack_b32_f16 v6, v6, v16
	v_fmac_f16_e32 v8, v41, v9
	ds_store_b32 v34, v4 offset:1584
	ds_store_b32 v34, v5 offset:3168
	;; [unrolled: 1-line block ×3, first 2 shown]
	s_wait_loadcnt 0x1
	v_lshrrev_b32_e32 v9, 16, v2
	s_wait_loadcnt 0x0
	v_lshrrev_b32_e32 v19, 16, v3
	v_mul_f16_e32 v16, v40, v17
	v_fma_f16 v17, v39, v17, -v18
	v_mul_f16_e32 v18, v38, v2
	v_mul_f16_e32 v20, v38, v9
	;; [unrolled: 1-line block ×4, first 2 shown]
	v_fmac_f16_e32 v16, v39, v13
	v_fma_f16 v9, v37, v9, -v18
	v_fmac_f16_e32 v20, v37, v2
	v_fma_f16 v2, v35, v19, -v21
	v_fmac_f16_e32 v22, v35, v3
	v_pack_b32_f16 v3, v8, v15
	v_pack_b32_f16 v4, v16, v17
	;; [unrolled: 1-line block ×3, first 2 shown]
	s_delay_alu instid0(VALU_DEP_4)
	v_pack_b32_f16 v2, v22, v2
	ds_store_2addr_b32 v34, v14, v3 offset1:176
	ds_store_b32 v34, v4 offset:2288
	ds_store_b32 v34, v5 offset:3872
	ds_store_b32 v34, v2 offset:5456
	s_and_saveexec_b32 s12, vcc_lo
	s_cbranch_execz .LBB0_3
; %bb.2:
	v_add_co_u32 v0, s2, v0, s2
	s_wait_alu 0xf1ff
	v_add_co_ci_u32_e64 v1, s2, s3, v1, s2
	global_load_b32 v7, v[10:11], off offset:1408
	global_load_b32 v6, v[0:1], off
	v_add_co_u32 v0, s2, v0, s10
	s_wait_alu 0xf1ff
	v_add_co_ci_u32_e64 v1, s2, s11, v1, s2
	s_clause 0x2
	global_load_b32 v8, v[10:11], off offset:2992
	global_load_b32 v9, v[10:11], off offset:4576
	;; [unrolled: 1-line block ×3, first 2 shown]
	v_add_co_u32 v2, s2, v0, s10
	s_wait_alu 0xf1ff
	v_add_co_ci_u32_e64 v3, s2, s11, v1, s2
	s_delay_alu instid0(VALU_DEP_2) | instskip(SKIP_1) | instid1(VALU_DEP_2)
	v_add_co_u32 v4, s2, v2, s10
	s_wait_alu 0xf1ff
	v_add_co_ci_u32_e64 v5, s2, s11, v3, s2
	global_load_b32 v0, v[0:1], off
	global_load_b32 v1, v[2:3], off
	;; [unrolled: 1-line block ×3, first 2 shown]
	s_wait_loadcnt 0x7
	v_lshrrev_b32_e32 v3, 16, v7
	s_wait_loadcnt 0x6
	v_lshrrev_b32_e32 v4, 16, v6
	s_delay_alu instid0(VALU_DEP_2)
	v_mul_f16_e32 v5, v3, v6
	s_wait_loadcnt 0x5
	v_lshrrev_b32_e32 v14, 16, v8
	s_wait_loadcnt 0x4
	v_lshrrev_b32_e32 v15, 16, v9
	v_mul_f16_e32 v3, v3, v4
	s_wait_loadcnt 0x3
	v_lshrrev_b32_e32 v16, 16, v13
	v_fma_f16 v4, v7, v4, -v5
	s_delay_alu instid0(VALU_DEP_3)
	v_fmac_f16_e32 v3, v7, v6
	s_wait_loadcnt 0x2
	v_lshrrev_b32_e32 v5, 16, v0
	v_mul_f16_e32 v17, v14, v0
	s_wait_loadcnt 0x1
	v_lshrrev_b32_e32 v6, 16, v1
	s_wait_loadcnt 0x0
	v_lshrrev_b32_e32 v7, 16, v2
	v_mul_f16_e32 v14, v14, v5
	v_fma_f16 v5, v8, v5, -v17
	v_mul_f16_e32 v17, v15, v1
	v_mul_f16_e32 v15, v15, v6
	;; [unrolled: 1-line block ×4, first 2 shown]
	v_fmac_f16_e32 v14, v8, v0
	v_fma_f16 v0, v9, v6, -v17
	v_fmac_f16_e32 v15, v9, v1
	v_fmac_f16_e32 v18, v13, v2
	v_fma_f16 v1, v13, v7, -v16
	v_pack_b32_f16 v2, v3, v4
	v_pack_b32_f16 v3, v14, v5
	;; [unrolled: 1-line block ×3, first 2 shown]
	s_delay_alu instid0(VALU_DEP_4)
	v_pack_b32_f16 v1, v18, v1
	ds_store_b32 v34, v2 offset:1408
	ds_store_b32 v34, v3 offset:2992
	;; [unrolled: 1-line block ×4, first 2 shown]
.LBB0_3:
	s_wait_alu 0xfffe
	s_or_b32 exec_lo, exec_lo, s12
	v_add_nc_u32_e32 v2, 0x600, v34
	v_add_nc_u32_e32 v4, 0xc00, v34
	;; [unrolled: 1-line block ×3, first 2 shown]
	global_wb scope:SCOPE_SE
	s_wait_dscnt 0x0
	s_wait_kmcnt 0x0
	s_barrier_signal -1
	s_barrier_wait -1
	global_inv scope:SCOPE_SE
	ds_load_2addr_b32 v[0:1], v34 offset1:176
	ds_load_2addr_b32 v[2:3], v2 offset0:12 offset1:188
	ds_load_2addr_b32 v[6:7], v4 offset0:24 offset1:200
	;; [unrolled: 1-line block ×3, first 2 shown]
                                        ; implicit-def: $vgpr8
                                        ; implicit-def: $vgpr13
                                        ; implicit-def: $vgpr9
                                        ; implicit-def: $vgpr14
	s_and_saveexec_b32 s2, vcc_lo
	s_cbranch_execz .LBB0_5
; %bb.4:
	ds_load_b32 v8, v34 offset:1408
	ds_load_b32 v9, v34 offset:2992
	;; [unrolled: 1-line block ×4, first 2 shown]
.LBB0_5:
	s_wait_alu 0xfffe
	s_or_b32 exec_lo, exec_lo, s2
	s_wait_dscnt 0x0
	v_pk_add_f16 v4, v2, v4 neg_lo:[0,1] neg_hi:[0,1]
	v_pk_add_f16 v17, v0, v6 neg_lo:[0,1] neg_hi:[0,1]
	;; [unrolled: 1-line block ×5, first 2 shown]
	v_lshrrev_b32_e32 v6, 16, v4
	s_load_b64 s[2:3], s[0:1], 0x8
	v_lshrrev_b32_e32 v15, 16, v17
	v_pk_add_f16 v14, v9, v14 neg_lo:[0,1] neg_hi:[0,1]
	v_lshrrev_b32_e32 v26, 16, v13
	v_sub_f16_e32 v18, v17, v6
	v_lshrrev_b32_e32 v6, 16, v5
	v_lshrrev_b32_e32 v20, 16, v7
	v_add_f16_e32 v19, v15, v4
	v_pk_fma_f16 v22, v8, 2.0, v13 op_sel_hi:[1,0,1] neg_lo:[0,0,1] neg_hi:[0,0,1]
	v_pk_fma_f16 v8, v9, 2.0, v14 op_sel_hi:[1,0,1] neg_lo:[0,0,1] neg_hi:[0,0,1]
	v_sub_f16_e32 v23, v7, v6
	v_lshrrev_b32_e32 v6, 16, v14
	v_add_f16_e32 v65, v14, v26
	v_lshlrev_b16 v14, 2, v44
	v_pk_fma_f16 v0, v0, 2.0, v17 op_sel_hi:[1,0,1] neg_lo:[0,0,1] neg_hi:[0,0,1]
	v_pk_fma_f16 v2, v2, 2.0, v4 op_sel_hi:[1,0,1] neg_lo:[0,0,1] neg_hi:[0,0,1]
	v_add_f16_e32 v24, v20, v5
	v_fma_f16 v27, v7, 2.0, -v23
	v_pk_fma_f16 v7, v1, 2.0, v7 op_sel_hi:[1,0,1] neg_lo:[0,0,1] neg_hi:[0,0,1]
	v_pk_fma_f16 v1, v3, 2.0, v5 op_sel_hi:[1,0,1] neg_lo:[0,0,1] neg_hi:[0,0,1]
	v_add_co_u32 v16, null, 0xb0, v44
	v_add_co_u32 v25, null, 0x160, v44
	v_fma_f16 v21, v17, 2.0, -v18
	v_fma_f16 v9, v15, 2.0, -v19
	v_pk_add_f16 v8, v22, v8 neg_lo:[0,1] neg_hi:[0,1]
	v_sub_f16_e32 v63, v13, v6
	v_and_b32_e32 v4, 0xffff, v14
	v_pk_add_f16 v2, v0, v2 neg_lo:[0,1] neg_hi:[0,1]
	v_fma_f16 v28, v20, 2.0, -v24
	v_pk_add_f16 v20, v7, v1 neg_lo:[0,1] neg_hi:[0,1]
	v_pk_fma_f16 v6, v22, 2.0, v8 op_sel_hi:[1,0,1] neg_lo:[0,0,1] neg_hi:[0,0,1]
	v_fma_f16 v15, v13, 2.0, -v63
	v_fma_f16 v17, v26, 2.0, -v65
	v_lshlrev_b32_e32 v57, 2, v4
	v_pk_fma_f16 v0, v0, 2.0, v2 op_sel_hi:[1,0,1] neg_lo:[0,0,1] neg_hi:[0,0,1]
	v_pack_b32_f16 v3, v18, v19
	v_pack_b32_f16 v1, v21, v9
	v_lshlrev_b32_e32 v58, 4, v16
	v_lshlrev_b32_e32 v56, 4, v25
	v_pk_fma_f16 v18, v7, 2.0, v20 op_sel_hi:[1,0,1] neg_lo:[0,0,1] neg_hi:[0,0,1]
	v_pack_b32_f16 v21, v23, v24
	v_pack_b32_f16 v19, v27, v28
	global_wb scope:SCOPE_SE
	s_wait_kmcnt 0x0
	s_barrier_signal -1
	s_barrier_wait -1
	global_inv scope:SCOPE_SE
	ds_store_b128 v57, v[0:3]
	ds_store_b128 v58, v[18:21]
	s_and_saveexec_b32 s0, vcc_lo
	s_cbranch_execz .LBB0_7
; %bb.6:
	v_perm_b32 v9, v65, v63, 0x5040100
	v_perm_b32 v7, v17, v15, 0x5040100
	ds_store_b128 v56, v[6:9]
.LBB0_7:
	s_wait_alu 0xfffe
	s_or_b32 exec_lo, exec_lo, s0
	v_add_nc_u32_e32 v0, 0xc00, v34
	v_add_nc_u32_e32 v1, 0x500, v34
	;; [unrolled: 1-line block ×3, first 2 shown]
	global_wb scope:SCOPE_SE
	s_wait_dscnt 0x0
	s_barrier_signal -1
	s_barrier_wait -1
	global_inv scope:SCOPE_SE
	ds_load_2addr_b32 v[2:3], v34 offset1:176
	ds_load_2addr_b32 v[13:14], v0 offset0:24 offset1:200
	ds_load_2addr_b32 v[0:1], v1 offset0:32 offset1:208
	;; [unrolled: 1-line block ×3, first 2 shown]
	v_cmp_gt_u16_e64 s0, 0x58, v44
	s_delay_alu instid0(VALU_DEP_1)
	s_and_saveexec_b32 s1, s0
	s_cbranch_execz .LBB0_9
; %bb.8:
	ds_load_b32 v15, v34 offset:5984
	ds_load_b32 v6, v34 offset:2816
	s_wait_dscnt 0x1
	v_lshrrev_b32_e32 v17, 16, v15
.LBB0_9:
	s_wait_alu 0xfffe
	s_or_b32 exec_lo, exec_lo, s1
	v_and_b32_e32 v32, 3, v44
	v_lshlrev_b32_e32 v9, 1, v44
	v_add_co_u32 v28, null, 0x2c0, v44
	v_lshlrev_b32_e32 v26, 1, v16
	s_delay_alu instid0(VALU_DEP_4) | instskip(NEXT) | instid1(VALU_DEP_4)
	v_lshlrev_b32_e32 v7, 2, v32
	v_add_nc_u32_e32 v18, 0x420, v9
	v_lshlrev_b32_e32 v16, 1, v25
	s_wait_dscnt 0x2
	v_lshrrev_b32_e32 v19, 16, v13
	v_and_or_b32 v30, 0x1f8, v9, v32
	global_load_b32 v33, v7, s[2:3]
	v_lshlrev_b32_e32 v54, 1, v28
	v_and_or_b32 v28, 0x7f8, v18, v32
	v_lshrrev_b32_e32 v21, 16, v14
	v_and_or_b32 v31, 0x3f8, v26, v32
	v_and_or_b32 v52, 0x7f8, v16, v32
	s_wait_dscnt 0x0
	v_lshrrev_b32_e32 v23, 16, v4
	v_lshrrev_b32_e32 v27, 16, v5
	v_lshlrev_b32_e32 v59, 2, v30
	v_lshlrev_b32_e32 v62, 2, v28
	;; [unrolled: 1-line block ×4, first 2 shown]
	v_lshrrev_b32_e32 v7, 16, v2
	v_lshrrev_b32_e32 v20, 16, v3
	;; [unrolled: 1-line block ×5, first 2 shown]
	global_wb scope:SCOPE_SE
	s_wait_loadcnt 0x0
	s_barrier_signal -1
	s_barrier_wait -1
	global_inv scope:SCOPE_SE
	v_lshrrev_b32_e32 v68, 16, v33
	s_delay_alu instid0(VALU_DEP_1)
	v_mul_f16_e32 v28, v19, v68
	v_mul_f16_e32 v30, v13, v68
	;; [unrolled: 1-line block ×10, first 2 shown]
	v_fma_f16 v13, v13, v33, -v28
	v_fmac_f16_e32 v30, v19, v33
	v_fma_f16 v14, v14, v33, -v31
	v_fmac_f16_e32 v52, v21, v33
	;; [unrolled: 2-line block ×5, first 2 shown]
	v_sub_f16_e32 v19, v2, v13
	v_sub_f16_e32 v21, v7, v30
	;; [unrolled: 1-line block ×10, first 2 shown]
	v_fma_f16 v2, v2, 2.0, -v19
	v_fma_f16 v7, v7, 2.0, -v21
	;; [unrolled: 1-line block ×9, first 2 shown]
	v_pack_b32_f16 v6, v19, v21
	v_pack_b32_f16 v19, v14, v23
	;; [unrolled: 1-line block ×3, first 2 shown]
	v_fma_f16 v14, v29, 2.0, -v17
	v_pack_b32_f16 v3, v3, v20
	v_pack_b32_f16 v4, v4, v27
	;; [unrolled: 1-line block ×5, first 2 shown]
	ds_store_2addr_b32 v59, v2, v6 offset1:4
	ds_store_2addr_b32 v60, v3, v19 offset1:4
	;; [unrolled: 1-line block ×4, first 2 shown]
	s_and_saveexec_b32 s1, s0
	s_cbranch_execz .LBB0_11
; %bb.10:
	v_and_or_b32 v0, 0x7f8, v54, v32
	v_perm_b32 v1, v14, v13, 0x5040100
	v_perm_b32 v2, v17, v15, 0x5040100
	s_delay_alu instid0(VALU_DEP_3)
	v_lshlrev_b32_e32 v0, 2, v0
	ds_store_2addr_b32 v0, v1, v2 offset1:4
.LBB0_11:
	s_wait_alu 0xfffe
	s_or_b32 exec_lo, exec_lo, s1
	v_add_nc_u32_e32 v0, 0xc00, v34
	v_add_nc_u32_e32 v1, 0x500, v34
	;; [unrolled: 1-line block ×3, first 2 shown]
	global_wb scope:SCOPE_SE
	s_wait_dscnt 0x0
	s_barrier_signal -1
	s_barrier_wait -1
	global_inv scope:SCOPE_SE
	ds_load_2addr_b32 v[2:3], v34 offset1:176
	ds_load_2addr_b32 v[6:7], v0 offset0:24 offset1:200
	ds_load_2addr_b32 v[0:1], v1 offset0:32 offset1:208
	;; [unrolled: 1-line block ×3, first 2 shown]
	s_and_saveexec_b32 s1, s0
	s_cbranch_execz .LBB0_13
; %bb.12:
	ds_load_b32 v13, v34 offset:2816
	ds_load_b32 v15, v34 offset:5984
	s_wait_dscnt 0x1
	v_lshrrev_b32_e32 v14, 16, v13
	s_wait_dscnt 0x0
	v_lshrrev_b32_e32 v17, 16, v15
.LBB0_13:
	s_wait_alu 0xfffe
	s_or_b32 exec_lo, exec_lo, s1
	v_and_b32_e32 v55, 7, v44
	s_wait_dscnt 0x2
	v_lshrrev_b32_e32 v20, 16, v6
	v_lshrrev_b32_e32 v22, 16, v7
	s_wait_dscnt 0x0
	v_lshrrev_b32_e32 v23, 16, v4
	v_lshrrev_b32_e32 v24, 16, v5
	v_lshlrev_b32_e32 v19, 2, v55
	v_and_or_b32 v16, 0x7f0, v16, v55
	v_and_or_b32 v18, 0x7f0, v18, v55
	;; [unrolled: 1-line block ×4, first 2 shown]
	global_load_b32 v64, v19, s[2:3] offset:16
	v_lshlrev_b32_e32 v71, 2, v16
	v_lshlrev_b32_e32 v72, 2, v18
	;; [unrolled: 1-line block ×4, first 2 shown]
	v_lshrrev_b32_e32 v19, 16, v2
	v_lshrrev_b32_e32 v21, 16, v3
	;; [unrolled: 1-line block ×4, first 2 shown]
	global_wb scope:SCOPE_SE
	s_wait_loadcnt 0x0
	s_barrier_signal -1
	s_barrier_wait -1
	global_inv scope:SCOPE_SE
	v_lshrrev_b32_e32 v76, 16, v64
	s_delay_alu instid0(VALU_DEP_1)
	v_mul_f16_e32 v16, v20, v76
	v_mul_f16_e32 v18, v6, v76
	;; [unrolled: 1-line block ×10, first 2 shown]
	v_fma_f16 v6, v6, v64, -v16
	v_fmac_f16_e32 v18, v20, v64
	v_fma_f16 v7, v7, v64, -v27
	v_fmac_f16_e32 v30, v22, v64
	;; [unrolled: 2-line block ×5, first 2 shown]
	v_sub_f16_e32 v16, v2, v6
	v_sub_f16_e32 v89, v19, v18
	v_sub_f16_e32 v18, v3, v7
	v_sub_f16_e32 v88, v21, v30
	v_sub_f16_e32 v24, v0, v4
	v_sub_f16_e32 v93, v28, v52
	v_sub_f16_e32 v22, v1, v5
	v_sub_f16_e32 v92, v29, v66
	v_sub_f16_e32 v20, v13, v15
	v_sub_f16_e32 v53, v14, v73
	v_fma_f16 v15, v2, 2.0, -v16
	v_fma_f16 v27, v19, 2.0, -v89
	;; [unrolled: 1-line block ×9, first 2 shown]
	v_pack_b32_f16 v0, v16, v89
	v_pack_b32_f16 v4, v15, v27
	v_fma_f16 v97, v14, 2.0, -v53
	v_pack_b32_f16 v1, v18, v88
	v_pack_b32_f16 v5, v17, v96
	;; [unrolled: 1-line block ×6, first 2 shown]
	ds_store_2addr_b32 v69, v4, v0 offset1:8
	ds_store_2addr_b32 v70, v5, v1 offset1:8
	;; [unrolled: 1-line block ×4, first 2 shown]
	s_and_saveexec_b32 s1, s0
	s_cbranch_execz .LBB0_15
; %bb.14:
	v_and_or_b32 v0, 0x7f0, v54, v55
	v_perm_b32 v1, v97, v19, 0x5040100
	v_perm_b32 v2, v53, v20, 0x5040100
	s_delay_alu instid0(VALU_DEP_3)
	v_lshlrev_b32_e32 v0, 2, v0
	ds_store_2addr_b32 v0, v1, v2 offset1:8
.LBB0_15:
	s_wait_alu 0xfffe
	s_or_b32 exec_lo, exec_lo, s1
	v_cmp_gt_u16_e64 s1, 0x90, v44
	global_wb scope:SCOPE_SE
	s_wait_dscnt 0x0
	s_barrier_signal -1
	s_barrier_wait -1
	global_inv scope:SCOPE_SE
	s_and_saveexec_b32 s10, s1
	s_cbranch_execz .LBB0_17
; %bb.16:
	v_add_nc_u32_e32 v0, 0x400, v34
	v_add_nc_u32_e32 v1, 0x800, v34
	;; [unrolled: 1-line block ×3, first 2 shown]
	ds_load_2addr_b32 v[15:16], v34 offset1:144
	ds_load_2addr_b32 v[17:18], v0 offset0:32 offset1:176
	v_add_nc_u32_e32 v0, 0x1200, v34
	ds_load_2addr_b32 v[23:24], v1 offset0:64 offset1:208
	ds_load_2addr_b32 v[21:22], v2 offset0:96 offset1:240
	ds_load_2addr_b32 v[19:20], v0 offset1:144
	ds_load_b32 v8, v34 offset:5760
	s_wait_dscnt 0x5
	v_lshrrev_b32_e32 v27, 16, v15
	v_lshrrev_b32_e32 v89, 16, v16
	s_wait_dscnt 0x4
	v_lshrrev_b32_e32 v96, 16, v17
	v_lshrrev_b32_e32 v88, 16, v18
	;; [unrolled: 3-line block ×5, first 2 shown]
.LBB0_17:
	s_wait_alu 0xfffe
	s_or_b32 exec_lo, exec_lo, s10
	v_and_b32_e32 v52, 15, v44
	s_wait_dscnt 0x0
	v_lshrrev_b32_e32 v98, 16, v8
	s_delay_alu instid0(VALU_DEP_2)
	v_mad_co_u64_u32 v[13:14], null, v52, 40, s[2:3]
	s_clause 0x2
	global_load_b128 v[4:7], v[13:14], off offset:48
	global_load_b128 v[0:3], v[13:14], off offset:64
	global_load_b64 v[13:14], v[13:14], off offset:80
	global_wb scope:SCOPE_SE
	s_wait_loadcnt 0x0
	s_barrier_signal -1
	s_barrier_wait -1
	global_inv scope:SCOPE_SE
	v_lshrrev_b32_e32 v79, 16, v4
	v_lshrrev_b32_e32 v78, 16, v5
	;; [unrolled: 1-line block ×5, first 2 shown]
	v_mul_f16_e32 v90, v89, v79
	v_mul_f16_e32 v87, v16, v79
	v_mul_f16_e32 v107, v98, v81
	v_mul_f16_e32 v28, v8, v81
	v_lshrrev_b32_e32 v73, 16, v7
	v_lshrrev_b32_e32 v66, 16, v0
	v_lshrrev_b32_e32 v77, 16, v3
	v_mul_f16_e32 v99, v96, v78
	v_mul_f16_e32 v86, v17, v78
	v_mul_f16_e32 v106, v53, v80
	v_mul_f16_e32 v29, v20, v80
	v_fma_f16 v91, v16, v4, -v90
	v_fmac_f16_e32 v87, v89, v4
	v_fma_f16 v8, v8, v14, -v107
	v_fmac_f16_e32 v28, v98, v14
	v_lshrrev_b32_e32 v67, 16, v1
	v_lshrrev_b32_e32 v74, 16, v2
	v_mul_f16_e32 v100, v88, v75
	v_mul_f16_e32 v85, v18, v75
	;; [unrolled: 1-line block ×6, first 2 shown]
	v_fma_f16 v90, v17, v5, -v99
	v_fmac_f16_e32 v86, v96, v5
	v_fma_f16 v17, v20, v13, -v106
	v_fmac_f16_e32 v29, v53, v13
	v_sub_f16_e32 v111, v91, v8
	v_sub_f16_e32 v122, v87, v28
	v_mul_f16_e32 v84, v23, v73
	v_mul_f16_e32 v83, v24, v66
	v_mul_f16_e32 v82, v21, v67
	v_mul_f16_e32 v104, v92, v74
	v_mul_f16_e32 v31, v22, v74
	v_fma_f16 v89, v18, v6, -v100
	v_fmac_f16_e32 v85, v88, v6
	v_fma_f16 v88, v23, v7, -v101
	v_fma_f16 v23, v24, v0, -v102
	;; [unrolled: 1-line block ×3, first 2 shown]
	v_fmac_f16_e32 v30, v97, v3
	v_add_f16_e32 v105, v91, v8
	v_add_f16_e32 v127, v87, v28
	v_sub_f16_e32 v112, v90, v17
	v_sub_f16_e32 v123, v86, v29
	v_mul_f16_e32 v100, 0xb853, v122
	v_mul_f16_e32 v102, 0xb853, v111
	;; [unrolled: 1-line block ×5, first 2 shown]
	v_fmac_f16_e32 v84, v95, v7
	v_fmac_f16_e32 v83, v93, v0
	;; [unrolled: 1-line block ×3, first 2 shown]
	v_fma_f16 v18, v22, v2, -v104
	v_fmac_f16_e32 v31, v92, v2
	v_add_f16_e32 v108, v90, v17
	v_add_f16_e64 v128, v86, v29
	v_sub_f16_e32 v115, v89, v16
	v_sub_f16_e32 v125, v85, v30
	v_mul_f16_e32 v98, 0xbb47, v123
	v_mul_f16_e32 v101, 0xbb47, v112
	;; [unrolled: 1-line block ×4, first 2 shown]
	v_fmamk_f16 v53, v105, 0x3abb, v100
	v_fma_f16 v93, v127, 0x3abb, -v102
	v_fmamk_f16 v94, v105, 0x36a6, v114
	v_fma_f16 v95, v127, 0x36a6, -v121
	v_fma_f16 v21, v21, v1, -v103
	v_add_f16_e32 v109, v89, v16
	v_add_f16_e64 v129, v85, v30
	v_sub_f16_e32 v119, v88, v18
	v_sub_f16_e32 v126, v84, v31
	v_mul_f16_e32 v92, 0xbbeb, v125
	v_mul_f16_e32 v99, 0xbbeb, v115
	;; [unrolled: 1-line block ×4, first 2 shown]
	v_fmamk_f16 v96, v108, 0x36a6, v98
	v_fma_f16 v132, v128, 0x36a6, -v101
	v_fma_f16 v133, 0xb93d, v108, v113
	v_fma_f16 v134, v128, 0xb93d, -v120
	v_add_f16_e32 v53, v15, v53
	v_add_f16_e32 v93, v27, v93
	;; [unrolled: 1-line block ×5, first 2 shown]
	v_add_f16_e64 v130, v84, v31
	v_sub_f16_e32 v117, v23, v21
	v_sub_f16_e32 v124, v83, v82
	v_mul_f16_e32 v22, 0xba0c, v126
	v_mul_f16_e32 v97, 0xba0c, v119
	;; [unrolled: 1-line block ×4, first 2 shown]
	v_fma_f16 v135, 0xb08e, v109, v92
	v_fma_f16 v136, v129, 0xb08e, -v99
	v_fma_f16 v137, 0xbbad, v109, v107
	v_fma_f16 v138, v129, 0xbbad, -v118
	v_add_f16_e32 v53, v96, v53
	v_add_f16_e64 v93, v132, v93
	v_add_f16_e64 v94, v133, v94
	;; [unrolled: 1-line block ×3, first 2 shown]
	v_add_f16_e32 v103, v23, v21
	v_add_f16_e64 v131, v83, v82
	v_mul_f16_e32 v19, 0xb482, v124
	v_mul_f16_e32 v24, 0xb482, v117
	;; [unrolled: 1-line block ×4, first 2 shown]
	v_fma_f16 v139, 0xb93d, v110, v22
	v_fma_f16 v140, v130, 0xb93d, -v97
	v_fma_f16 v141, 0xb08e, v110, v104
	v_fma_f16 v142, v130, 0xb08e, -v116
	v_add_f16_e64 v53, v135, v53
	v_add_f16_e64 v93, v136, v93
	;; [unrolled: 1-line block ×4, first 2 shown]
	v_fma_f16 v143, 0xbbad, v103, v19
	v_fma_f16 v144, v131, 0xbbad, -v24
	v_fma_f16 v132, 0x3abb, v103, v20
	v_fma_f16 v133, v131, 0x3abb, -v106
	v_add_f16_e64 v53, v139, v53
	v_add_f16_e64 v93, v140, v93
	;; [unrolled: 1-line block ×4, first 2 shown]
	s_delay_alu instid0(VALU_DEP_4) | instskip(NEXT) | instid1(VALU_DEP_4)
	v_add_f16_e64 v95, v143, v53
	v_add_f16_e64 v96, v144, v93
	s_delay_alu instid0(VALU_DEP_4) | instskip(NEXT) | instid1(VALU_DEP_4)
	v_add_f16_e64 v93, v132, v94
	v_add_f16_e64 v94, v133, v134
	v_lshrrev_b32_e32 v53, 4, v44
	s_and_saveexec_b32 s10, s1
	s_cbranch_execz .LBB0_19
; %bb.18:
	v_mul_f16_e64 v141, 0xb08e, v127
	v_mul_f16_e64 v147, 0xbbad, v128
	;; [unrolled: 1-line block ×5, first 2 shown]
	v_fma_f16 v146, 0x3beb, v111, v141
	v_fma_f16 v151, 0xb482, v112, v147
	;; [unrolled: 1-line block ×3, first 2 shown]
	v_mul_f16_e64 v156, 0x3abb, v130
	v_fma_f16 v161, 0xbbad, v108, v159
	v_add_f16_e64 v146, v27, v146
	v_mul_f16_e64 v162, 0x3b47, v125
	v_add_f16_e64 v158, v15, v158
	v_mul_f16_e64 v164, 0xb853, v126
	v_mul_f16_e64 v163, 0xb93d, v127
	v_add_f16_e64 v146, v151, v146
	v_fma_f16 v151, 0xbb47, v115, v152
	v_add_f16_e64 v158, v161, v158
	v_fma_f16 v161, 0x36a6, v109, v162
	v_fma_f16 v166, 0x3a0c, v111, v163
	v_mul_f16_e64 v167, 0xb08e, v128
	v_add_f16_e64 v146, v151, v146
	v_fma_f16 v151, 0x3853, v119, v156
	v_add_f16_e64 v158, v161, v158
	v_fma_f16 v161, 0x3abb, v110, v164
	v_mul_f16_e64 v169, 0xba0c, v122
	v_mul_f16_e64 v168, 0x3abb, v129
	v_add_f16_e64 v146, v151, v146
	v_mul_f16_e64 v151, 0xb93d, v131
	v_add_f16_e64 v158, v161, v158
	v_mul_f16_e64 v161, 0xba0c, v124
	v_fma_f16 v172, 0xb93d, v105, v169
	v_mul_f16_e64 v173, 0x3beb, v123
	v_fma_f16 v165, 0x3a0c, v117, v151
	;; [unrolled: 2-line block ×3, first 2 shown]
	v_mul_f16_e64 v174, 0xb853, v125
	v_mul_f16_e64 v175, 0xb482, v126
	v_add_f16_e64 v146, v165, v146
	v_add_f16_e64 v165, v27, v166
	v_fma_f16 v166, 0xbbeb, v112, v167
	v_add_f16_e64 v158, v171, v158
	v_add_f16_e64 v171, v15, v172
	v_fma_f16 v172, 0xb08e, v108, v173
	v_mul_f16_e64 v133, 0x3abb, v127
	v_add_f16_e64 v165, v166, v165
	v_fma_f16 v166, 0x3853, v115, v168
	v_mul_f16_e64 v135, 0x36a6, v127
	v_add_f16_e64 v171, v172, v171
	v_fma_f16 v172, 0x3abb, v109, v174
	v_mul_f16_e32 v127, 0xbbad, v127
	v_add_f16_e64 v165, v166, v165
	v_fma_f16 v166, 0x3482, v119, v170
	v_mul_f16_e64 v137, 0x36a6, v128
	v_add_f16_e64 v171, v172, v171
	v_fma_f16 v172, 0xbbad, v110, v175
	v_mul_f16_e64 v139, 0xb93d, v128
	v_add_f16_e64 v165, v166, v165
	v_mul_f16_e64 v166, 0x36a6, v131
	v_fma_f16 v177, 0x3482, v111, v127
	v_mul_f16_e64 v128, 0x3abb, v128
	v_add_f16_e64 v171, v172, v171
	v_mul_f16_e64 v172, 0x3b47, v124
	v_fma_f16 v176, 0xbb47, v117, v166
	v_mul_f16_e32 v122, 0xb482, v122
	v_fmac_f16_e32 v127, 0xb482, v111
	v_mul_f16_e64 v142, 0xb08e, v129
	v_mul_f16_e64 v144, 0xbbad, v129
	v_add_f16_e64 v165, v176, v165
	v_add_f16_e64 v176, v27, v177
	v_fma_f16 v177, 0xb853, v112, v128
	v_mul_f16_e64 v129, 0xb93d, v129
	v_fma_f16 v178, 0x36a6, v103, v172
	v_fma_f16 v179, 0xbbad, v105, v122
	v_mul_f16_e32 v123, 0x3853, v123
	v_add_f16_e32 v127, v27, v127
	v_fmac_f16_e64 v128, 0x3853, v112
	v_fma_f16 v122, v105, 0xbbad, -v122
	v_mul_f16_e64 v148, 0xb93d, v130
	v_mul_f16_e64 v150, 0xb08e, v130
	v_add_f16_e64 v176, v177, v176
	v_fma_f16 v177, 0x3a0c, v115, v129
	v_mul_f16_e64 v130, 0x36a6, v130
	v_add_f16_e64 v171, v178, v171
	v_add_f16_e64 v178, v15, v179
	v_fma_f16 v179, 0x3abb, v108, v123
	v_mul_f16_e32 v125, 0xba0c, v125
	v_add_f16_e64 v127, v128, v127
	v_fmac_f16_e64 v129, 0xba0c, v115
	v_add_f16_e32 v122, v15, v122
	v_fma_f16 v123, v108, 0x3abb, -v123
	v_add_f16_e64 v176, v177, v176
	v_fma_f16 v177, 0xbb47, v119, v130
	v_mul_f16_e32 v126, 0x3b47, v126
	v_add_f16_e64 v127, v129, v127
	v_fmac_f16_e64 v130, 0x3b47, v119
	v_fmac_f16_e64 v163, 0xba0c, v111
	v_add_f16_e32 v122, v123, v122
	v_fma_f16 v123, v109, 0xb93d, -v125
	v_add_f16_e64 v176, v177, v176
	v_add_f16_e64 v177, v179, v178
	v_fma_f16 v178, 0xb93d, v109, v125
	v_add_f16_e64 v125, v130, v127
	v_add_f16_e64 v127, v27, v163
	v_fmac_f16_e64 v167, 0x3beb, v112
	v_add_f16_e32 v122, v123, v122
	v_fma_f16 v123, v110, 0x36a6, -v126
	v_fmac_f16_e64 v168, 0xb853, v115
	v_fmac_f16_e64 v141, 0xbbeb, v111
	v_add_f16_e64 v127, v167, v127
	v_fmac_f16_e64 v147, 0x3482, v112
	v_add_f16_e32 v122, v123, v122
	v_fma_f16 v123, v105, 0xb93d, -v169
	v_mul_f16_e64 v132, 0x3abb, v105
	v_add_f16_e64 v111, v168, v127
	v_fma_f16 v127, v108, 0xb08e, -v173
	v_mul_f16_e64 v134, 0x36a6, v105
	v_add_f16_e32 v123, v15, v123
	v_fmac_f16_e64 v152, 0x3b47, v115
	v_fma_f16 v105, v105, 0xb08e, -v155
	v_fma_f16 v115, v110, 0xbbad, -v175
	v_mul_f16_e64 v136, 0x36a6, v108
	v_add_f16_e32 v112, v127, v123
	v_fma_f16 v123, v109, 0x3abb, -v174
	v_mul_f16_e64 v138, 0xb93d, v108
	v_add_f16_e32 v105, v15, v105
	;; [unrolled: 3-line block ×3, first 2 shown]
	v_mul_f16_e64 v143, 0xbbad, v109
	v_sub_f16_e64 v114, v134, v114
	v_add_f16_e32 v105, v108, v105
	v_fma_f16 v108, v109, 0x36a6, -v162
	v_add_f16_e32 v112, v115, v112
	v_add_f16_e64 v115, v121, v135
	v_add_f16_e32 v91, v15, v91
	v_add_f16_e32 v87, v27, v87
	v_mul_f16_e64 v145, 0xb93d, v110
	v_mul_f16_e64 v149, 0xb08e, v110
	v_add_f16_e32 v109, v27, v115
	v_add_f16_e64 v115, v120, v139
	v_add_f16_e64 v177, v178, v177
	v_fma_f16 v178, 0x36a6, v110, v126
	v_add_f16_e32 v105, v108, v105
	v_fma_f16 v108, v110, 0x3abb, -v164
	v_add_f16_e32 v109, v115, v109
	v_add_f16_e64 v110, v118, v144
	v_add_f16_e32 v114, v15, v114
	v_sub_f16_e64 v113, v138, v113
	v_add_f16_e32 v90, v91, v90
	v_add_f16_e32 v86, v87, v86
	v_mul_f16_e32 v124, 0xbbeb, v124
	v_add_f16_e32 v105, v108, v105
	v_add_f16_e32 v108, v110, v109
	;; [unrolled: 1-line block ×3, first 2 shown]
	v_sub_f16_e64 v107, v143, v107
	v_add_f16_e32 v89, v90, v89
	v_add_f16_e32 v85, v86, v85
	v_add_f16_e64 v128, v178, v177
	v_fma_f16 v129, 0xb08e, v103, v124
	v_add_f16_e32 v91, v107, v110
	v_sub_f16_e64 v87, v149, v104
	v_add_f16_e64 v90, v102, v133
	v_add_f16_e32 v88, v89, v88
	v_add_f16_e32 v84, v85, v84
	v_add_f16_e64 v126, v129, v128
	v_add_f16_e64 v128, v27, v141
	v_add_f16_e32 v86, v87, v91
	v_sub_f16_e64 v87, v132, v100
	v_add_f16_e32 v27, v27, v90
	v_add_f16_e64 v85, v101, v137
	v_add_f16_e32 v23, v88, v23
	v_add_f16_e32 v83, v84, v83
	;; [unrolled: 1-line block ×3, first 2 shown]
	v_sub_f16_e64 v87, v136, v98
	v_add_f16_e32 v27, v85, v27
	v_add_f16_e64 v84, v99, v142
	v_add_f16_e32 v21, v23, v21
	v_add_f16_e32 v23, v83, v82
	;; [unrolled: 1-line block ×3, first 2 shown]
	v_sub_f16_e64 v82, v140, v92
	v_add_f16_e32 v27, v84, v27
	v_add_f16_e32 v18, v21, v18
	v_add_f16_e64 v21, v97, v148
	v_add_f16_e32 v23, v23, v31
	v_mul_f16_e64 v153, 0xbbad, v103
	v_mul_f16_e64 v154, 0xbbad, v131
	v_add_f16_e64 v127, v147, v128
	v_add_f16_e32 v15, v82, v15
	v_sub_f16_e64 v22, v145, v22
	v_add_f16_e32 v16, v18, v16
	v_add_f16_e32 v18, v21, v27
	;; [unrolled: 1-line block ×3, first 2 shown]
	v_mul_f16_e64 v157, 0x3abb, v103
	v_mul_f16_e64 v160, 0x3abb, v131
	v_add_f16_e64 v123, v152, v127
	v_fmac_f16_e64 v156, 0xb853, v119
	v_add_f16_e64 v109, v116, v150
	v_add_f16_e64 v23, v24, v154
	v_add_f16_e32 v15, v22, v15
	v_add_f16_e32 v16, v16, v17
	v_mul_u32_u24_e32 v17, 0xb0, v53
	v_add_f16_e32 v21, v21, v29
	v_sub_f16_e64 v19, v153, v19
	v_mul_f16_e64 v131, 0xb08e, v131
	v_fmac_f16_e64 v170, 0xb482, v119
	v_fma_f16 v124, v103, 0xb08e, -v124
	v_fma_f16 v119, v103, 0x36a6, -v172
	v_add_f16_e64 v121, v156, v123
	v_fmac_f16_e64 v151, 0xba0c, v117
	v_fma_f16 v103, v103, 0xb93d, -v161
	v_add_f16_e32 v108, v109, v108
	v_add_f16_e64 v104, v106, v160
	v_add_f16_e32 v18, v23, v18
	v_add_f16_e32 v8, v16, v8
	v_or_b32_e32 v16, v17, v52
	v_add_f16_e32 v17, v21, v28
	v_add_f16_e32 v15, v19, v15
	v_sub_f16_e64 v19, v157, v20
	v_fma_f16 v179, 0x3beb, v117, v131
	v_fmac_f16_e64 v131, 0xbbeb, v117
	v_add_f16_e64 v111, v170, v111
	v_fmac_f16_e64 v166, 0x3b47, v117
	v_add_f16_e64 v115, v151, v121
	v_add_f16_e32 v20, v104, v108
	v_lshlrev_b32_e32 v16, 2, v16
	v_pack_b32_f16 v8, v8, v17
	v_pack_b32_f16 v15, v15, v18
	v_add_f16_e32 v17, v19, v86
	v_add_f16_e32 v18, v103, v105
	v_add_f16_e64 v125, v131, v125
	v_add_f16_e64 v111, v166, v111
	v_add_f16_e32 v19, v119, v112
	v_add_f16_e32 v21, v124, v122
	v_add_f16_e64 v176, v179, v176
	ds_store_2addr_b32 v16, v8, v15 offset1:16
	v_pack_b32_f16 v8, v17, v20
	v_pack_b32_f16 v15, v18, v115
	;; [unrolled: 1-line block ×7, first 2 shown]
	v_perm_b32 v22, v94, v93, 0x5040100
	v_perm_b32 v23, v96, v95, 0x5040100
	ds_store_2addr_b32 v16, v8, v15 offset0:32 offset1:48
	ds_store_2addr_b32 v16, v17, v18 offset0:64 offset1:80
	;; [unrolled: 1-line block ×4, first 2 shown]
	ds_store_b32 v16, v23 offset:640
.LBB0_19:
	s_wait_alu 0xfffe
	s_or_b32 exec_lo, exec_lo, s10
	v_and_b32_e32 v15, 0xffff, v25
	v_lshlrev_b32_e32 v27, 2, v9
	global_wb scope:SCOPE_SE
	s_wait_dscnt 0x0
	s_barrier_signal -1
	s_barrier_wait -1
	v_mul_u32_u24_e32 v15, 0xba2f, v15
	global_inv scope:SCOPE_SE
	global_load_b64 v[8:9], v27, s[2:3] offset:688
	v_add_nc_u32_e32 v29, 0x500, v34
	v_add_nc_u32_e32 v30, 0x1000, v34
	v_lshrrev_b32_e32 v15, 23, v15
	v_add_nc_u32_e32 v31, 0xa00, v34
	ds_load_2addr_b32 v[17:18], v34 offset1:176
	v_lshlrev_b32_e32 v26, 2, v26
	v_mul_lo_u16 v15, 0xb0, v15
	s_delay_alu instid0(VALU_DEP_1) | instskip(SKIP_1) | instid1(VALU_DEP_2)
	v_sub_nc_u16 v28, v25, v15
	v_lshlrev_b32_e32 v25, 3, v25
	v_lshlrev_b16 v15, 3, v28
	v_and_b32_e32 v28, 0xffff, v28
	s_delay_alu instid0(VALU_DEP_2) | instskip(NEXT) | instid1(VALU_DEP_2)
	v_and_b32_e32 v15, 0xffff, v15
	v_lshlrev_b32_e32 v82, 2, v28
	s_wait_dscnt 0x0
	v_lshrrev_b32_e32 v84, 16, v17
	v_lshrrev_b32_e32 v85, 16, v18
	v_add_co_u32 v15, s10, s2, v15
	s_wait_alu 0xf1ff
	v_add_co_ci_u32_e64 v16, null, s3, 0, s10
	v_add_nc_u32_e32 v99, 0x1000, v82
	global_load_b64 v[15:16], v[15:16], off offset:688
	ds_load_b32 v83, v34 offset:5632
	ds_load_2addr_b32 v[19:20], v29 offset0:32 offset1:208
	ds_load_2addr_b32 v[21:22], v30 offset0:32 offset1:208
	;; [unrolled: 1-line block ×3, first 2 shown]
	global_wb scope:SCOPE_SE
	s_wait_loadcnt_dscnt 0x0
	s_barrier_signal -1
	s_barrier_wait -1
	global_inv scope:SCOPE_SE
	v_lshrrev_b32_e32 v86, 16, v83
	v_lshrrev_b32_e32 v87, 16, v20
	;; [unrolled: 1-line block ×9, first 2 shown]
	s_delay_alu instid0(VALU_DEP_2) | instskip(SKIP_1) | instid1(VALU_DEP_3)
	v_mul_f16_e32 v92, v87, v89
	v_mul_f16_e32 v100, v20, v89
	;; [unrolled: 1-line block ×8, first 2 shown]
	v_fma_f16 v20, v20, v8, -v92
	v_fmac_f16_e32 v100, v87, v8
	v_fma_f16 v21, v21, v9, -v101
	v_fmac_f16_e32 v102, v88, v9
	;; [unrolled: 2-line block ×4, first 2 shown]
	v_add_f16_e32 v28, v17, v20
	v_add_f16_e32 v87, v20, v21
	;; [unrolled: 1-line block ×5, first 2 shown]
	v_sub_f16_e32 v103, v104, v106
	v_add_f16_e32 v105, v85, v104
	v_add_f16_e32 v104, v104, v106
	v_sub_f16_e32 v88, v100, v102
	v_sub_f16_e32 v20, v20, v21
	v_add_f16_e32 v100, v18, v23
	v_sub_f16_e32 v23, v23, v22
	v_add_f16_e32 v21, v28, v21
	v_fma_f16 v17, -0.5, v87, v17
	v_add_f16_e32 v28, v91, v102
	v_fmac_f16_e32 v84, -0.5, v92
	v_fmac_f16_e32 v18, -0.5, v101
	;; [unrolled: 1-line block ×3, first 2 shown]
	v_lshrrev_b32_e32 v92, 16, v15
	v_lshrrev_b32_e32 v91, 16, v16
	v_add_f16_e32 v22, v100, v22
	v_fmamk_f16 v100, v88, 0x3aee, v17
	v_fmac_f16_e32 v17, 0xbaee, v88
	v_fmamk_f16 v88, v20, 0xbaee, v84
	v_fmac_f16_e32 v84, 0x3aee, v20
	;; [unrolled: 2-line block ×4, first 2 shown]
	v_pack_b32_f16 v21, v21, v28
	v_mul_f16_e32 v23, v98, v92
	v_mul_f16_e32 v28, v86, v91
	;; [unrolled: 1-line block ×4, first 2 shown]
	v_add_f16_e32 v87, v105, v106
	v_fma_f16 v23, v24, v15, -v23
	v_fma_f16 v24, v83, v16, -v28
	v_fmac_f16_e32 v102, v98, v15
	v_fmac_f16_e32 v103, v86, v16
	v_pack_b32_f16 v22, v22, v87
	v_pack_b32_f16 v28, v100, v88
	v_add_f16_e32 v83, v23, v24
	v_pack_b32_f16 v17, v17, v84
	v_add_f16_e32 v86, v102, v103
	v_add_f16_e32 v84, v19, v23
	v_sub_f16_e32 v87, v102, v103
	v_add_f16_e32 v88, v97, v102
	v_fmac_f16_e32 v19, -0.5, v83
	v_sub_f16_e32 v23, v23, v24
	v_fmac_f16_e32 v97, -0.5, v86
	v_add_f16_e32 v24, v84, v24
	v_add_f16_e32 v83, v88, v103
	v_fmamk_f16 v84, v87, 0x3aee, v19
	v_fmac_f16_e32 v19, 0xbaee, v87
	v_fmamk_f16 v86, v23, 0xbaee, v97
	v_fmac_f16_e32 v97, 0x3aee, v23
	v_pack_b32_f16 v20, v20, v101
	v_pack_b32_f16 v18, v18, v85
	;; [unrolled: 1-line block ×5, first 2 shown]
	ds_store_2addr_b32 v34, v21, v28 offset1:176
	ds_store_2addr_b32 v29, v17, v22 offset0:32 offset1:208
	ds_store_2addr_b32 v31, v20, v18 offset0:64 offset1:240
	;; [unrolled: 1-line block ×3, first 2 shown]
	ds_store_b32 v82, v19 offset:5632
	global_wb scope:SCOPE_SE
	s_wait_dscnt 0x0
	s_barrier_signal -1
	s_barrier_wait -1
	global_inv scope:SCOPE_SE
	s_clause 0x2
	global_load_b64 v[21:22], v27, s[2:3] offset:2096
	global_load_b64 v[19:20], v26, s[2:3] offset:2096
	;; [unrolled: 1-line block ×3, first 2 shown]
	ds_load_2addr_b32 v[25:26], v34 offset1:176
	ds_load_2addr_b32 v[23:24], v29 offset0:32 offset1:208
	ds_load_2addr_b32 v[27:28], v30 offset0:32 offset1:208
	;; [unrolled: 1-line block ×3, first 2 shown]
	ds_load_b32 v98, v34 offset:5632
	s_add_nc_u64 s[2:3], s[16:17], 0x18c0
	s_wait_dscnt 0x4
	v_lshrrev_b32_e32 v99, 16, v25
	s_wait_dscnt 0x3
	v_lshrrev_b32_e32 v100, 16, v24
	;; [unrolled: 2-line block ×4, first 2 shown]
	v_lshrrev_b32_e32 v104, 16, v28
	v_lshrrev_b32_e32 v105, 16, v30
	s_wait_dscnt 0x0
	v_lshrrev_b32_e32 v106, 16, v98
	v_lshrrev_b32_e32 v102, 16, v26
	;; [unrolled: 1-line block ×3, first 2 shown]
	s_wait_loadcnt 0x2
	v_lshrrev_b32_e32 v88, 16, v21
	v_lshrrev_b32_e32 v87, 16, v22
	s_wait_loadcnt 0x1
	v_lshrrev_b32_e32 v86, 16, v19
	v_lshrrev_b32_e32 v85, 16, v20
	;; [unrolled: 3-line block ×3, first 2 shown]
	v_mul_f16_e32 v107, v100, v88
	v_mul_f16_e32 v108, v24, v88
	;; [unrolled: 1-line block ×12, first 2 shown]
	v_fma_f16 v24, v24, v21, -v107
	v_fmac_f16_e32 v108, v100, v21
	v_fma_f16 v27, v27, v22, -v109
	v_fmac_f16_e32 v110, v101, v22
	;; [unrolled: 2-line block ×6, first 2 shown]
	v_add_f16_e32 v101, v24, v27
	v_add_f16_e32 v105, v108, v110
	;; [unrolled: 1-line block ×5, first 2 shown]
	v_sub_f16_e32 v103, v108, v110
	v_add_f16_e32 v104, v99, v108
	v_sub_f16_e32 v24, v24, v27
	v_sub_f16_e32 v108, v112, v114
	v_add_f16_e32 v109, v102, v112
	v_add_f16_e32 v112, v23, v30
	;; [unrolled: 1-line block ×3, first 2 shown]
	v_sub_f16_e32 v115, v116, v118
	v_add_f16_e32 v117, v97, v116
	v_add_f16_e32 v116, v116, v118
	v_fma_f16 v25, -0.5, v101, v25
	v_fmac_f16_e32 v99, -0.5, v105
	v_add_f16_e32 v106, v26, v29
	v_sub_f16_e32 v29, v29, v28
	v_fmac_f16_e32 v26, -0.5, v107
	v_fmac_f16_e32 v102, -0.5, v111
	v_sub_f16_e32 v30, v30, v98
	v_add_f16_e32 v27, v100, v27
	v_add_f16_e32 v100, v104, v110
	;; [unrolled: 1-line block ×3, first 2 shown]
	v_fmac_f16_e32 v23, -0.5, v113
	v_add_f16_e32 v104, v117, v118
	v_fmac_f16_e32 v97, -0.5, v116
	v_fmamk_f16 v105, v103, 0x3aee, v25
	v_fmac_f16_e32 v25, 0xbaee, v103
	v_fmamk_f16 v103, v24, 0xbaee, v99
	v_fmac_f16_e32 v99, 0x3aee, v24
	v_add_f16_e32 v28, v106, v28
	v_add_f16_e32 v101, v109, v114
	v_fmamk_f16 v24, v108, 0x3aee, v26
	v_fmac_f16_e32 v26, 0xbaee, v108
	v_fmamk_f16 v106, v29, 0xbaee, v102
	v_fmac_f16_e32 v102, 0x3aee, v29
	;; [unrolled: 2-line block ×4, first 2 shown]
	v_pack_b32_f16 v30, v98, v104
	v_pack_b32_f16 v98, v105, v103
	;; [unrolled: 1-line block ×9, first 2 shown]
	ds_store_b32 v34, v98 offset:2112
	ds_store_b32 v34, v25 offset:4224
	ds_store_2addr_b32 v34, v27, v28 offset1:176
	ds_store_b32 v34, v26 offset:4928
	ds_store_b32 v34, v30 offset:1408
	ds_store_2addr_b32 v31, v24, v29 offset0:64 offset1:240
	ds_store_b32 v34, v99 offset:5632
	global_wb scope:SCOPE_SE
	s_wait_dscnt 0x0
	s_barrier_signal -1
	s_barrier_wait -1
	global_inv scope:SCOPE_SE
	s_clause 0x7
	global_load_b32 v26, v[10:11], off offset:6336
	global_load_b32 v27, v34, s[2:3] offset:5456
	global_load_b32 v29, v34, s[2:3] offset:3872
	;; [unrolled: 1-line block ×7, first 2 shown]
	ds_load_2addr_b32 v[24:25], v34 offset1:176
	v_add_nc_u32_e32 v109, 0x280, v34
	v_add_nc_u32_e32 v110, 0x880, v34
	;; [unrolled: 1-line block ×3, first 2 shown]
	s_wait_dscnt 0x0
	v_lshrrev_b32_e32 v28, 16, v24
	s_wait_loadcnt 0x6
	v_lshrrev_b32_e32 v115, 16, v27
	s_wait_loadcnt 0x3
	;; [unrolled: 2-line block ×3, first 2 shown]
	v_lshrrev_b32_e32 v113, 16, v105
	v_lshrrev_b32_e32 v30, 16, v26
	s_wait_loadcnt 0x1
	v_lshrrev_b32_e32 v114, 16, v106
	s_delay_alu instid0(VALU_DEP_2) | instskip(SKIP_1) | instid1(VALU_DEP_2)
	v_mul_f16_e32 v98, v28, v30
	v_mul_f16_e32 v30, v24, v30
	v_fma_f16 v24, v24, v26, -v98
	s_delay_alu instid0(VALU_DEP_2) | instskip(SKIP_2) | instid1(VALU_DEP_3)
	v_fmac_f16_e32 v30, v28, v26
	v_add_nc_u32_e32 v26, 0x600, v34
	v_add_nc_u32_e32 v28, 0xc00, v34
	v_pack_b32_f16 v24, v24, v30
	v_add_nc_u32_e32 v30, 0x1200, v34
	ds_store_b32 v34, v24
	ds_load_2addr_b32 v[98:99], v26 offset0:12 offset1:188
	ds_load_2addr_b32 v[100:101], v28 offset0:24 offset1:200
	;; [unrolled: 1-line block ×3, first 2 shown]
	v_lshrrev_b32_e32 v24, 16, v25
	s_delay_alu instid0(VALU_DEP_1) | instskip(SKIP_1) | instid1(VALU_DEP_2)
	v_mul_f16_e32 v111, v24, v108
	v_mul_f16_e32 v108, v25, v108
	v_fma_f16 v25, v25, v104, -v111
	s_delay_alu instid0(VALU_DEP_2)
	v_fmac_f16_e32 v108, v24, v104
	v_lshrrev_b32_e32 v104, 16, v31
	s_wait_loadcnt 0x0
	v_lshrrev_b32_e32 v24, 16, v107
	v_lshrrev_b32_e32 v111, 16, v29
	v_pack_b32_f16 v25, v25, v108
	s_wait_dscnt 0x2
	v_lshrrev_b32_e32 v108, 16, v98
	v_mul_f16_e32 v116, v98, v113
	s_wait_dscnt 0x1
	v_lshrrev_b32_e32 v117, 16, v100
	v_lshrrev_b32_e32 v121, 16, v99
	s_wait_dscnt 0x0
	v_lshrrev_b32_e32 v119, 16, v102
	v_lshrrev_b32_e32 v123, 16, v101
	;; [unrolled: 1-line block ×3, first 2 shown]
	v_mul_f16_e32 v113, v108, v113
	v_mul_f16_e32 v118, v100, v114
	;; [unrolled: 1-line block ×3, first 2 shown]
	v_fmac_f16_e32 v116, v108, v105
	v_mul_f16_e32 v108, v117, v114
	v_mul_f16_e32 v104, v121, v104
	;; [unrolled: 1-line block ×8, first 2 shown]
	v_fma_f16 v98, v98, v105, -v113
	v_fmac_f16_e32 v118, v117, v106
	v_fmac_f16_e32 v122, v121, v31
	v_fma_f16 v100, v100, v106, -v108
	v_fma_f16 v31, v99, v31, -v104
	v_fmac_f16_e32 v120, v119, v107
	v_fmac_f16_e32 v124, v123, v29
	v_fma_f16 v24, v102, v107, -v24
	v_fma_f16 v29, v101, v29, -v111
	v_fmac_f16_e32 v126, v125, v27
	v_fma_f16 v27, v103, v27, -v114
	v_pack_b32_f16 v98, v98, v116
	v_pack_b32_f16 v99, v100, v118
	;; [unrolled: 1-line block ×6, first 2 shown]
	ds_store_2addr_b32 v109, v25, v98 offset0:16 offset1:236
	ds_store_2addr_b32 v110, v31, v99 offset0:28 offset1:248
	;; [unrolled: 1-line block ×3, first 2 shown]
	ds_store_b32 v34, v27 offset:5456
	s_and_saveexec_b32 s10, vcc_lo
	s_cbranch_execz .LBB0_21
; %bb.20:
	s_wait_alu 0xfffe
	v_add_co_u32 v24, s2, s2, v34
	s_wait_alu 0xf1ff
	v_add_co_ci_u32_e64 v25, null, s3, 0, s2
	s_clause 0x3
	global_load_b32 v27, v[24:25], off offset:1408
	global_load_b32 v29, v[24:25], off offset:2992
	;; [unrolled: 1-line block ×4, first 2 shown]
	ds_load_b32 v25, v34 offset:1408
	ds_load_b32 v98, v34 offset:2992
	;; [unrolled: 1-line block ×4, first 2 shown]
	s_wait_dscnt 0x3
	v_lshrrev_b32_e32 v101, 16, v25
	s_wait_dscnt 0x2
	v_lshrrev_b32_e32 v102, 16, v98
	;; [unrolled: 2-line block ×4, first 2 shown]
	s_wait_loadcnt 0x3
	v_lshrrev_b32_e32 v104, 16, v27
	s_wait_loadcnt 0x2
	v_lshrrev_b32_e32 v106, 16, v29
	;; [unrolled: 2-line block ×4, first 2 shown]
	v_mul_f16_e32 v109, v101, v104
	v_mul_f16_e32 v104, v25, v104
	;; [unrolled: 1-line block ×8, first 2 shown]
	v_fma_f16 v25, v25, v27, -v109
	v_fmac_f16_e32 v104, v101, v27
	v_fma_f16 v27, v98, v29, -v110
	v_fmac_f16_e32 v106, v102, v29
	;; [unrolled: 2-line block ×4, first 2 shown]
	v_pack_b32_f16 v24, v25, v104
	v_pack_b32_f16 v25, v27, v106
	;; [unrolled: 1-line block ×3, first 2 shown]
	s_delay_alu instid0(VALU_DEP_4)
	v_pack_b32_f16 v29, v31, v108
	ds_store_b32 v34, v24 offset:1408
	ds_store_b32 v34, v25 offset:2992
	;; [unrolled: 1-line block ×4, first 2 shown]
.LBB0_21:
	s_wait_alu 0xfffe
	s_or_b32 exec_lo, exec_lo, s10
	global_wb scope:SCOPE_SE
	s_wait_dscnt 0x0
	s_barrier_signal -1
	s_barrier_wait -1
	global_inv scope:SCOPE_SE
	ds_load_2addr_b32 v[24:25], v34 offset1:176
	ds_load_2addr_b32 v[26:27], v26 offset0:12 offset1:188
	ds_load_2addr_b32 v[28:29], v28 offset0:24 offset1:200
	;; [unrolled: 1-line block ×3, first 2 shown]
	s_and_saveexec_b32 s2, vcc_lo
	s_cbranch_execz .LBB0_23
; %bb.22:
	ds_load_b32 v23, v34 offset:1408
	ds_load_b32 v93, v34 offset:2992
	;; [unrolled: 1-line block ×4, first 2 shown]
	s_wait_dscnt 0x3
	v_lshrrev_b32_e32 v97, 16, v23
	s_wait_dscnt 0x2
	v_lshrrev_b32_e32 v94, 16, v93
	;; [unrolled: 2-line block ×4, first 2 shown]
.LBB0_23:
	s_wait_alu 0xfffe
	s_or_b32 exec_lo, exec_lo, s2
	s_wait_dscnt 0x0
	v_pk_add_f16 v30, v26, v30 neg_lo:[0,1] neg_hi:[0,1]
	v_pk_add_f16 v28, v24, v28 neg_lo:[0,1] neg_hi:[0,1]
	;; [unrolled: 1-line block ×3, first 2 shown]
	v_sub_f16_e32 v95, v23, v95
	v_sub_f16_e32 v99, v93, v63
	v_lshrrev_b32_e32 v31, 16, v30
	v_pk_add_f16 v29, v25, v29 neg_lo:[0,1] neg_hi:[0,1]
	v_sub_f16_e32 v96, v97, v96
	v_sub_f16_e32 v100, v94, v65
	v_lshrrev_b32_e32 v65, 16, v28
	v_add_f16_e32 v101, v28, v31
	v_lshrrev_b32_e32 v31, 16, v98
	v_fma_f16 v23, v23, 2.0, -v95
	v_fma_f16 v63, v93, 2.0, -v99
	v_lshrrev_b32_e32 v102, 16, v29
	v_sub_f16_e32 v103, v65, v30
	v_add_f16_e32 v105, v29, v31
	v_fma_f16 v104, v28, 2.0, -v101
	v_fma_f16 v93, v97, 2.0, -v96
	;; [unrolled: 1-line block ×3, first 2 shown]
	v_sub_f16_e32 v63, v23, v63
	v_pk_fma_f16 v28, v24, 2.0, v28 op_sel_hi:[1,0,1] neg_lo:[0,0,1] neg_hi:[0,0,1]
	v_pk_fma_f16 v26, v26, 2.0, v30 op_sel_hi:[1,0,1] neg_lo:[0,0,1] neg_hi:[0,0,1]
	v_sub_f16_e32 v106, v102, v98
	v_fma_f16 v107, v29, 2.0, -v105
	v_pk_fma_f16 v29, v25, 2.0, v29 op_sel_hi:[1,0,1] neg_lo:[0,0,1] neg_hi:[0,0,1]
	v_pk_fma_f16 v25, v27, 2.0, v98 op_sel_hi:[1,0,1] neg_lo:[0,0,1] neg_hi:[0,0,1]
	v_fma_f16 v97, v65, 2.0, -v103
	v_sub_f16_e32 v65, v93, v31
	v_fma_f16 v31, v23, 2.0, -v63
	v_add_f16_e32 v23, v100, v95
	v_sub_f16_e32 v24, v96, v99
	v_pk_add_f16 v27, v28, v26 neg_lo:[0,1] neg_hi:[0,1]
	v_fma_f16 v102, v102, 2.0, -v106
	v_pk_add_f16 v98, v29, v25 neg_lo:[0,1] neg_hi:[0,1]
	v_fma_f16 v93, v93, 2.0, -v65
	v_fma_f16 v94, v95, 2.0, -v23
	;; [unrolled: 1-line block ×3, first 2 shown]
	v_pk_fma_f16 v25, v28, 2.0, v27 op_sel_hi:[1,0,1] neg_lo:[0,0,1] neg_hi:[0,0,1]
	v_pack_b32_f16 v28, v101, v103
	v_pack_b32_f16 v26, v104, v97
	v_pk_fma_f16 v96, v29, 2.0, v98 op_sel_hi:[1,0,1] neg_lo:[0,0,1] neg_hi:[0,0,1]
	v_pack_b32_f16 v99, v105, v106
	v_pack_b32_f16 v97, v107, v102
	global_wb scope:SCOPE_SE
	s_barrier_signal -1
	s_barrier_wait -1
	global_inv scope:SCOPE_SE
	ds_store_b128 v57, v[25:28]
	ds_store_b128 v58, v[96:99]
	s_and_saveexec_b32 s2, vcc_lo
	s_cbranch_execz .LBB0_25
; %bb.24:
	v_perm_b32 v26, v24, v23, 0x5040100
	v_perm_b32 v25, v65, v63, 0x5040100
	;; [unrolled: 1-line block ×4, first 2 shown]
	ds_store_b128 v56, v[23:26]
.LBB0_25:
	s_wait_alu 0xfffe
	s_or_b32 exec_lo, exec_lo, s2
	v_add_nc_u32_e32 v23, 0xc00, v34
	v_add_nc_u32_e32 v24, 0x500, v34
	v_add_nc_u32_e32 v27, 0x1100, v34
	global_wb scope:SCOPE_SE
	s_wait_dscnt 0x0
	s_barrier_signal -1
	s_barrier_wait -1
	global_inv scope:SCOPE_SE
	ds_load_2addr_b32 v[25:26], v34 offset1:176
	ds_load_2addr_b32 v[29:30], v23 offset0:24 offset1:200
	ds_load_2addr_b32 v[23:24], v24 offset0:32 offset1:208
	ds_load_2addr_b32 v[27:28], v27 offset0:56 offset1:232
	s_and_saveexec_b32 s2, s0
	s_cbranch_execz .LBB0_27
; %bb.26:
	ds_load_b32 v31, v34 offset:2816
	ds_load_b32 v94, v34 offset:5984
	s_wait_dscnt 0x1
	v_lshrrev_b32_e32 v93, 16, v31
	s_wait_dscnt 0x0
	v_lshrrev_b32_e32 v95, 16, v94
.LBB0_27:
	s_wait_alu 0xfffe
	s_or_b32 exec_lo, exec_lo, s2
	s_wait_dscnt 0x2
	v_lshrrev_b32_e32 v57, 16, v29
	v_lshrrev_b32_e32 v96, 16, v30
	s_wait_dscnt 0x0
	v_lshrrev_b32_e32 v98, 16, v27
	v_mul_f16_e32 v104, v68, v30
	v_lshrrev_b32_e32 v101, 16, v28
	v_mul_f16_e32 v100, v68, v57
	v_mul_f16_e32 v103, v68, v96
	;; [unrolled: 1-line block ×3, first 2 shown]
	v_lshrrev_b32_e32 v56, 16, v25
	v_lshrrev_b32_e32 v58, 16, v26
	v_fmac_f16_e32 v100, v33, v29
	v_mul_f16_e32 v29, v68, v98
	v_fmac_f16_e32 v103, v33, v30
	v_fma_f16 v30, v33, v96, -v104
	v_mul_f16_e32 v96, v68, v27
	v_fma_f16 v57, v33, v57, -v102
	v_fmac_f16_e32 v29, v33, v27
	v_mul_f16_e32 v27, v68, v101
	v_mul_f16_e32 v102, v68, v28
	;; [unrolled: 1-line block ×4, first 2 shown]
	v_lshrrev_b32_e32 v97, 16, v23
	v_fma_f16 v96, v33, v98, -v96
	v_lshrrev_b32_e32 v99, 16, v24
	v_fmac_f16_e32 v27, v33, v28
	v_fma_f16 v28, v33, v101, -v102
	v_fmac_f16_e32 v104, v33, v94
	v_sub_f16_e32 v94, v25, v100
	v_fma_f16 v33, v33, v95, -v68
	v_sub_f16_e32 v68, v56, v57
	v_sub_f16_e32 v95, v26, v103
	;; [unrolled: 1-line block ×7, first 2 shown]
	v_fma_f16 v100, v25, 2.0, -v94
	v_fma_f16 v56, v56, 2.0, -v68
	v_sub_f16_e32 v25, v31, v104
	v_sub_f16_e32 v30, v93, v33
	v_fma_f16 v26, v26, 2.0, -v95
	v_fma_f16 v58, v58, 2.0, -v98
	v_fma_f16 v23, v23, 2.0, -v29
	v_fma_f16 v33, v97, 2.0, -v96
	v_fma_f16 v24, v24, 2.0, -v27
	v_fma_f16 v97, v99, 2.0, -v28
	v_fma_f16 v31, v31, 2.0, -v25
	v_fma_f16 v57, v93, 2.0, -v30
	v_pack_b32_f16 v56, v100, v56
	v_pack_b32_f16 v68, v94, v68
	;; [unrolled: 1-line block ×8, first 2 shown]
	global_wb scope:SCOPE_SE
	s_barrier_signal -1
	s_barrier_wait -1
	global_inv scope:SCOPE_SE
	ds_store_2addr_b32 v59, v56, v68 offset1:4
	ds_store_2addr_b32 v60, v26, v58 offset1:4
	;; [unrolled: 1-line block ×4, first 2 shown]
	s_and_saveexec_b32 s2, s0
	s_cbranch_execz .LBB0_29
; %bb.28:
	v_and_or_b32 v23, 0x7f8, v54, v32
	v_perm_b32 v24, v57, v31, 0x5040100
	v_perm_b32 v26, v30, v25, 0x5040100
	s_delay_alu instid0(VALU_DEP_3)
	v_lshlrev_b32_e32 v23, 2, v23
	ds_store_2addr_b32 v23, v24, v26 offset1:4
.LBB0_29:
	s_wait_alu 0xfffe
	s_or_b32 exec_lo, exec_lo, s2
	v_add_nc_u32_e32 v23, 0xc00, v34
	v_add_nc_u32_e32 v24, 0x500, v34
	;; [unrolled: 1-line block ×3, first 2 shown]
	global_wb scope:SCOPE_SE
	s_wait_dscnt 0x0
	s_barrier_signal -1
	s_barrier_wait -1
	global_inv scope:SCOPE_SE
	ds_load_2addr_b32 v[26:27], v34 offset1:176
	ds_load_2addr_b32 v[28:29], v23 offset0:24 offset1:200
	ds_load_2addr_b32 v[32:33], v24 offset0:32 offset1:208
	;; [unrolled: 1-line block ×3, first 2 shown]
	s_and_saveexec_b32 s2, s0
	s_cbranch_execz .LBB0_31
; %bb.30:
	ds_load_b32 v31, v34 offset:2816
	ds_load_b32 v25, v34 offset:5984
	s_wait_dscnt 0x1
	v_lshrrev_b32_e32 v57, 16, v31
	s_wait_dscnt 0x0
	v_lshrrev_b32_e32 v30, 16, v25
.LBB0_31:
	s_wait_alu 0xfffe
	s_or_b32 exec_lo, exec_lo, s2
	s_wait_dscnt 0x2
	v_lshrrev_b32_e32 v58, 16, v28
	v_lshrrev_b32_e32 v60, 16, v29
	s_wait_dscnt 0x0
	v_lshrrev_b32_e32 v61, 16, v23
	v_lshrrev_b32_e32 v93, 16, v24
	v_mul_f16_e32 v95, v76, v28
	v_mul_f16_e32 v68, v76, v58
	;; [unrolled: 1-line block ×4, first 2 shown]
	v_lshrrev_b32_e32 v56, 16, v26
	v_fma_f16 v58, v64, v58, -v95
	v_fmac_f16_e32 v68, v64, v28
	v_mul_f16_e32 v28, v76, v61
	v_fmac_f16_e32 v96, v64, v29
	v_fma_f16 v29, v64, v60, -v97
	v_mul_f16_e32 v60, v76, v23
	v_mul_f16_e32 v95, v76, v93
	v_fmac_f16_e32 v28, v64, v23
	v_mul_f16_e32 v23, v76, v24
	v_mul_f16_e32 v97, v76, v30
	v_fma_f16 v61, v64, v61, -v60
	v_mul_f16_e32 v60, v76, v25
	v_fmac_f16_e32 v95, v64, v24
	v_sub_f16_e32 v24, v26, v68
	v_lshrrev_b32_e32 v59, 16, v27
	v_lshrrev_b32_e32 v62, 16, v32
	;; [unrolled: 1-line block ×3, first 2 shown]
	v_fma_f16 v93, v64, v93, -v23
	v_fmac_f16_e32 v97, v64, v25
	v_fma_f16 v64, v64, v30, -v60
	v_sub_f16_e32 v68, v56, v58
	v_fma_f16 v23, v26, 2.0, -v24
	v_sub_f16_e32 v26, v32, v28
	v_sub_f16_e32 v30, v27, v96
	;; [unrolled: 1-line block ×6, first 2 shown]
	v_fma_f16 v56, v56, 2.0, -v68
	v_fma_f16 v25, v32, 2.0, -v26
	v_sub_f16_e32 v32, v31, v97
	v_sub_f16_e32 v93, v57, v64
	v_fma_f16 v29, v27, 2.0, -v30
	v_fma_f16 v76, v59, 2.0, -v60
	;; [unrolled: 1-line block ×7, first 2 shown]
	v_pack_b32_f16 v33, v23, v56
	v_pack_b32_f16 v57, v24, v68
	;; [unrolled: 1-line block ×8, first 2 shown]
	global_wb scope:SCOPE_SE
	s_barrier_signal -1
	s_barrier_wait -1
	global_inv scope:SCOPE_SE
	ds_store_2addr_b32 v69, v33, v57 offset1:8
	ds_store_2addr_b32 v70, v94, v95 offset1:8
	;; [unrolled: 1-line block ×4, first 2 shown]
	s_and_saveexec_b32 s2, s0
	s_cbranch_execz .LBB0_33
; %bb.32:
	v_and_or_b32 v33, 0x7f0, v54, v55
	v_perm_b32 v54, v64, v31, 0x5040100
	v_perm_b32 v55, v93, v32, 0x5040100
	s_delay_alu instid0(VALU_DEP_3)
	v_lshlrev_b32_e32 v33, 2, v33
	ds_store_2addr_b32 v33, v54, v55 offset1:8
.LBB0_33:
	s_wait_alu 0xfffe
	s_or_b32 exec_lo, exec_lo, s2
	global_wb scope:SCOPE_SE
	s_wait_dscnt 0x0
	s_barrier_signal -1
	s_barrier_wait -1
	global_inv scope:SCOPE_SE
	s_and_saveexec_b32 s0, s1
	s_cbranch_execz .LBB0_35
; %bb.34:
	v_add_nc_u32_e32 v25, 0x400, v34
	v_add_nc_u32_e32 v26, 0x800, v34
	v_add_nc_u32_e32 v27, 0xc00, v34
	v_add_nc_u32_e32 v31, 0x1200, v34
	ds_load_2addr_b32 v[23:24], v34 offset1:144
	ds_load_2addr_b32 v[29:30], v25 offset0:32 offset1:176
	ds_load_2addr_b32 v[25:26], v26 offset0:64 offset1:208
	;; [unrolled: 1-line block ×3, first 2 shown]
	ds_load_2addr_b32 v[31:32], v31 offset1:144
	ds_load_b32 v63, v34 offset:5760
	s_wait_dscnt 0x3
	v_lshrrev_b32_e32 v62, 16, v25
	v_lshrrev_b32_e32 v56, 16, v23
	;; [unrolled: 1-line block ×6, first 2 shown]
	s_wait_dscnt 0x2
	v_lshrrev_b32_e32 v59, 16, v27
	v_lshrrev_b32_e32 v61, 16, v28
	s_wait_dscnt 0x1
	v_lshrrev_b32_e32 v64, 16, v31
	v_lshrrev_b32_e32 v93, 16, v32
	s_wait_dscnt 0x0
	v_lshrrev_b32_e32 v65, 16, v63
.LBB0_35:
	s_wait_alu 0xfffe
	s_or_b32 exec_lo, exec_lo, s0
	global_wb scope:SCOPE_SE
	s_barrier_signal -1
	s_barrier_wait -1
	global_inv scope:SCOPE_SE
	s_and_saveexec_b32 s0, s1
	s_cbranch_execz .LBB0_37
; %bb.36:
	v_mul_f16_e32 v55, v79, v68
	v_mul_f16_e32 v33, v81, v65
	;; [unrolled: 1-line block ×5, first 2 shown]
	v_fmac_f16_e32 v55, v4, v24
	v_fmac_f16_e32 v33, v14, v63
	v_mul_f16_e32 v63, v81, v63
	v_mul_f16_e32 v24, v79, v24
	v_fmac_f16_e32 v57, v5, v29
	v_fmac_f16_e32 v54, v13, v32
	v_sub_f16_e32 v69, v55, v33
	v_mul_f16_e32 v32, v80, v32
	v_mul_f16_e32 v29, v78, v29
	v_fma_f16 v14, v14, v65, -v63
	v_fma_f16 v24, v4, v68, -v24
	v_sub_f16_e32 v63, v57, v54
	v_fma_f16 v4, v13, v93, -v32
	v_fma_f16 v29, v5, v76, -v29
	v_mul_f16_e32 v32, 0xb853, v69
	v_add_f16_e32 v65, v14, v24
	v_mul_f16_e32 v13, 0xbb47, v63
	v_mul_f16_e32 v5, v77, v64
	v_add_f16_e32 v68, v4, v29
	v_mul_f16_e32 v76, v77, v31
	v_fmamk_f16 v70, v65, 0x3abb, v32
	v_fmac_f16_e32 v72, v6, v30
	v_fmac_f16_e32 v5, v3, v31
	v_fmamk_f16 v71, v68, 0x36a6, v13
	v_mul_f16_e32 v30, v75, v30
	v_add_f16_e32 v70, v56, v70
	v_fma_f16 v3, v3, v64, -v76
	v_sub_f16_e32 v75, v72, v5
	v_add_f16_e32 v76, v33, v55
	v_fma_f16 v6, v6, v60, -v30
	v_add_f16_e32 v31, v71, v70
	v_mul_f16_e32 v71, v74, v61
	v_mul_f16_e32 v70, v73, v62
	v_sub_f16_e32 v79, v29, v4
	v_mul_f16_e32 v30, 0xbbeb, v75
	v_add_f16_e32 v60, v3, v6
	v_fmac_f16_e32 v71, v2, v28
	v_mul_f16_e32 v28, v74, v28
	v_fmac_f16_e32 v70, v7, v25
	v_mul_f16_e32 v25, v73, v25
	v_sub_f16_e32 v74, v24, v14
	v_mul_f16_e32 v80, 0xbb47, v79
	v_fma_f16 v2, v2, v61, -v28
	v_mul_f16_e32 v61, v67, v59
	v_fma_f16 v7, v7, v62, -v25
	v_mul_f16_e32 v25, v66, v58
	v_mul_f16_e32 v77, 0xb853, v74
	v_sub_f16_e32 v64, v70, v71
	v_fmac_f16_e32 v61, v1, v27
	v_mul_f16_e32 v27, v67, v27
	v_fmac_f16_e32 v25, v0, v26
	v_mul_f16_e32 v26, v66, v26
	v_fma_f16 v66, v76, 0x3abb, -v77
	v_add_f16_e32 v67, v54, v57
	v_fma_f16 v1, v1, v59, -v27
	v_sub_f16_e32 v27, v6, v3
	v_fmamk_f16 v28, v60, 0xb08e, v30
	v_mul_f16_e32 v62, 0xba0c, v64
	v_add_f16_e32 v73, v2, v7
	v_fma_f16 v0, v0, v58, -v26
	v_add_f16_e32 v26, v23, v66
	v_fma_f16 v58, v67, 0x36a6, -v80
	v_add_f16_e32 v59, v5, v72
	v_mul_f16_e32 v66, 0xbbeb, v27
	v_sub_f16_e32 v93, v7, v2
	v_add_f16_e32 v28, v28, v31
	v_fmamk_f16 v31, v73, 0xb93d, v62
	v_sub_f16_e32 v78, v25, v61
	v_add_f16_e32 v26, v58, v26
	v_fma_f16 v58, v59, 0xb08e, -v66
	v_add_f16_e32 v95, v71, v70
	v_mul_f16_e32 v96, 0xba0c, v93
	v_mul_f16_e32 v81, 0xb482, v78
	v_add_f16_e32 v94, v1, v0
	v_add_f16_e32 v28, v31, v28
	v_mul_f16_e32 v31, 0xbb47, v69
	v_add_f16_e32 v26, v58, v26
	v_fma_f16 v58, v95, 0xb93d, -v96
	v_fmamk_f16 v97, v94, 0xbbad, v81
	v_mul_f16_e32 v99, 0xba0c, v63
	v_fmamk_f16 v98, v65, 0x36a6, v31
	v_mul_f16_e32 v100, 0x3482, v75
	v_add_f16_e32 v26, v58, v26
	v_sub_f16_e32 v58, v0, v1
	v_add_f16_e32 v28, v97, v28
	v_add_f16_e32 v97, v56, v98
	v_fmamk_f16 v98, v68, 0xb93d, v99
	v_add_f16_e32 v101, v61, v25
	v_mul_f16_e32 v102, 0xb482, v58
	v_mul_f16_e32 v103, 0xbb47, v74
	;; [unrolled: 1-line block ×3, first 2 shown]
	v_add_f16_e32 v97, v98, v97
	v_fmamk_f16 v98, v60, 0xbbad, v100
	v_fma_f16 v105, v101, 0xbbad, -v102
	v_fma_f16 v106, v76, 0x36a6, -v103
	v_mul_f16_e32 v107, 0xba0c, v79
	v_mul_f16_e32 v108, 0x3482, v27
	v_add_f16_e32 v97, v98, v97
	v_fmamk_f16 v98, v73, 0xb08e, v104
	v_add_f16_e32 v26, v105, v26
	v_add_f16_e32 v105, v23, v106
	v_fma_f16 v106, v67, 0xb93d, -v107
	v_mul_f16_e32 v109, 0xbbeb, v69
	v_add_f16_e32 v97, v98, v97
	v_mul_f16_e32 v98, 0x3853, v78
	v_mul_f16_e32 v110, 0x3beb, v93
	v_add_f16_e32 v105, v106, v105
	v_fma_f16 v106, v59, 0xbbad, -v108
	v_fmamk_f16 v112, v65, 0xb08e, v109
	v_fmamk_f16 v111, v94, 0x3abb, v98
	v_mul_f16_e32 v113, 0x3482, v63
	v_mul_f16_e32 v114, 0x3b47, v75
	v_add_f16_e32 v105, v106, v105
	v_fma_f16 v106, v95, 0xb08e, -v110
	v_add_f16_e32 v97, v111, v97
	v_add_f16_e32 v111, v56, v112
	v_fmamk_f16 v112, v68, 0xbbad, v113
	v_mul_f16_e32 v115, 0xbbeb, v74
	v_add_f16_e32 v105, v106, v105
	v_mul_f16_e32 v106, 0x3853, v58
	v_mul_f16_e32 v116, 0xb853, v64
	v_add_f16_e32 v111, v112, v111
	v_fmamk_f16 v112, v60, 0x36a6, v114
	v_fma_f16 v118, v76, 0xb08e, -v115
	v_fma_f16 v117, v101, 0x3abb, -v106
	v_mul_f16_e32 v119, 0x3482, v79
	v_mul_f16_e32 v120, 0x3b47, v27
	v_add_f16_e32 v111, v112, v111
	v_fmamk_f16 v112, v73, 0x3abb, v116
	v_add_f16_e32 v105, v117, v105
	v_add_f16_e32 v117, v23, v118
	v_fma_f16 v118, v67, 0xbbad, -v119
	v_mul_f16_e32 v121, 0xba0c, v69
	v_add_f16_e32 v111, v112, v111
	v_mul_f16_e32 v112, 0xba0c, v78
	v_mul_f16_e32 v122, 0xb853, v93
	v_add_f16_e32 v117, v118, v117
	v_fma_f16 v118, v59, 0x36a6, -v120
	v_fmamk_f16 v124, v65, 0xb93d, v121
	v_fmamk_f16 v123, v94, 0xb93d, v112
	v_mul_f16_e32 v125, 0x3beb, v63
	v_mul_f16_e32 v126, 0xb853, v75
	v_add_f16_e32 v117, v118, v117
	v_fma_f16 v118, v95, 0x3abb, -v122
	v_add_f16_e32 v111, v123, v111
	v_add_f16_e32 v123, v56, v124
	v_fmamk_f16 v124, v68, 0xb08e, v125
	v_mul_f16_e32 v127, 0xba0c, v74
	v_add_f16_e32 v117, v118, v117
	v_mul_f16_e32 v118, 0xba0c, v58
	v_mul_f16_e64 v128, 0xb482, v64
	v_add_f16_e32 v123, v124, v123
	v_fmamk_f16 v124, v60, 0x3abb, v126
	v_fma_f16 v130, v76, 0xb93d, -v127
	v_fma_f16 v129, v101, 0xb93d, -v118
	v_mul_f16_e64 v131, 0x3beb, v79
	v_mul_f16_e64 v132, 0xb853, v27
	v_add_f16_e32 v123, v124, v123
	v_fma_f16 v124, 0xbbad, v73, v128
	v_add_f16_e64 v117, v129, v117
	v_add_f16_e64 v129, v23, v130
	v_fma_f16 v130, v67, 0xb08e, -v131
	v_mul_f16_e32 v69, 0xb482, v69
	v_add_f16_e32 v123, v124, v123
	v_mul_f16_e32 v124, 0x3b47, v78
	v_mul_f16_e64 v133, 0xb482, v93
	v_add_f16_e64 v129, v130, v129
	v_fma_f16 v130, v59, 0x3abb, -v132
	v_fma_f16 v135, 0xbbad, v65, v69
	v_fma_f16 v134, 0x36a6, v94, v124
	v_mul_f16_e32 v63, 0x3853, v63
	v_mul_f16_e32 v75, 0xba0c, v75
	v_add_f16_e64 v129, v130, v129
	v_fma_f16 v130, v95, 0xbbad, -v133
	v_add_f16_e64 v123, v134, v123
	v_add_f16_e64 v134, v56, v135
	v_fma_f16 v135, 0x3abb, v68, v63
	v_mul_f16_e32 v74, 0xb482, v74
	v_add_f16_e64 v129, v130, v129
	v_mul_f16_e64 v130, 0x3b47, v58
	v_mul_f16_e32 v64, 0x3b47, v64
	v_add_f16_e64 v134, v135, v134
	v_fma_f16 v135, 0xb93d, v60, v75
	v_fma_f16 v137, v76, 0xbbad, -v74
	v_fma_f16 v136, v101, 0x36a6, -v130
	v_mul_f16_e32 v79, 0x3853, v79
	v_fma_f16 v69, v65, 0xbbad, -v69
	v_add_f16_e64 v134, v135, v134
	v_fma_f16 v135, 0x36a6, v73, v64
	v_add_f16_e64 v129, v136, v129
	v_add_f16_e64 v136, v23, v137
	v_fma_f16 v137, v67, 0x3abb, -v79
	v_mul_f16_e32 v27, 0xba0c, v27
	v_add_f16_e32 v69, v56, v69
	v_fma_f16 v63, v68, 0x3abb, -v63
	v_add_f16_e64 v134, v135, v134
	v_add_f16_e64 v135, v137, v136
	v_fma_f16 v136, v59, 0xb93d, -v27
	v_mul_f16_e32 v93, 0x3b47, v93
	v_fmac_f16_e32 v74, 0xbbad, v76
	v_add_f16_e32 v63, v63, v69
	v_fma_f16 v69, v60, 0xb93d, -v75
	v_mul_f16_e32 v78, 0xbbeb, v78
	v_add_f16_e64 v135, v136, v135
	v_fma_f16 v136, v95, 0x36a6, -v93
	v_mul_f16_e32 v58, 0xbbeb, v58
	v_add_f16_e32 v74, v23, v74
	v_fmac_f16_e32 v79, 0x3abb, v67
	v_add_f16_e32 v63, v69, v63
	v_fma_f16 v64, v73, 0x36a6, -v64
	v_fma_f16 v121, v65, 0xb93d, -v121
	v_fma_f16 v137, 0xb08e, v94, v78
	v_add_f16_e64 v75, v136, v135
	v_fma_f16 v69, v101, 0xb08e, -v58
	v_add_f16_e32 v74, v79, v74
	v_fmac_f16_e32 v27, 0xb93d, v59
	v_add_f16_e32 v63, v64, v63
	v_fma_f16 v64, v94, 0xb08e, -v78
	v_add_f16_e32 v78, v56, v121
	v_fma_f16 v79, v68, 0xb08e, -v125
	v_add_f16_e32 v27, v27, v74
	v_add_f16_e32 v69, v69, v75
	;; [unrolled: 1-line block ×3, first 2 shown]
	v_fma_f16 v74, v60, 0x3abb, -v126
	v_add_f16_e32 v64, v79, v78
	v_fmac_f16_e32 v127, 0xb93d, v76
	v_fma_f16 v75, v65, 0xb08e, -v109
	v_add_f16_e32 v55, v23, v55
	v_add_f16_e32 v24, v24, v56
	;; [unrolled: 1-line block ×3, first 2 shown]
	v_fma_f16 v74, v73, 0xbbad, -v128
	v_add_f16_e32 v78, v23, v127
	v_fmac_f16_e64 v131, 0xb08e, v67
	v_add_f16_e32 v75, v56, v75
	v_fma_f16 v79, v68, 0xbbad, -v113
	v_add_f16_e32 v55, v57, v55
	v_add_f16_e32 v24, v29, v24
	v_add_f16_e32 v64, v74, v64
	v_fma_f16 v74, v94, 0x36a6, -v124
	v_add_f16_e64 v78, v131, v78
	v_fmac_f16_e64 v132, 0x3abb, v59
	v_add_f16_e32 v75, v79, v75
	v_fma_f16 v79, v60, 0x36a6, -v114
	v_fmac_f16_e32 v115, 0xb08e, v76
	v_add_f16_e32 v55, v72, v55
	v_add_f16_e32 v6, v6, v24
	;; [unrolled: 1-line block ×3, first 2 shown]
	v_add_f16_e64 v74, v132, v78
	v_add_f16_e32 v75, v79, v75
	v_fma_f16 v78, v73, 0x3abb, -v116
	v_add_f16_e32 v79, v23, v115
	v_fmac_f16_e32 v119, 0xbbad, v67
	v_fmac_f16_e32 v103, 0x36a6, v76
	v_fma_f16 v32, v65, 0x3abb, -v32
	v_fmac_f16_e32 v77, 0x3abb, v76
	v_add_f16_e32 v55, v70, v55
	v_add_f16_e32 v6, v7, v6
	;; [unrolled: 1-line block ×4, first 2 shown]
	v_fma_f16 v79, v68, 0xb93d, -v99
	v_add_f16_e32 v99, v23, v103
	v_add_f16_e32 v32, v56, v32
	v_fma_f16 v7, v68, 0x36a6, -v13
	v_add_f16_e32 v13, v23, v77
	v_add_f16_e32 v23, v25, v55
	;; [unrolled: 1-line block ×3, first 2 shown]
	v_fmac_f16_e32 v93, 0x36a6, v95
	v_fma_f16 v31, v65, 0x36a6, -v31
	v_fmac_f16_e32 v80, 0x36a6, v67
	v_add_f16_e32 v6, v7, v32
	v_fma_f16 v7, v60, 0xb08e, -v30
	v_add_f16_e32 v23, v61, v23
	v_add_f16_e32 v0, v1, v0
	v_add_f16_e32 v27, v93, v27
	v_add_f16_e32 v31, v56, v31
	v_fma_f16 v93, v94, 0xb93d, -v112
	v_fmac_f16_e32 v107, 0xb93d, v67
	v_add_f16_e32 v13, v80, v13
	v_fmac_f16_e32 v66, 0xb08e, v59
	v_add_f16_e32 v1, v7, v6
	v_add_f16_e32 v6, v71, v23
	;; [unrolled: 1-line block ×3, first 2 shown]
	v_fmac_f16_e32 v120, 0x36a6, v59
	v_add_f16_e32 v31, v79, v31
	v_fma_f16 v79, v60, 0xbbad, -v100
	v_add_f16_e32 v75, v93, v75
	v_add_f16_e32 v93, v107, v99
	v_fmac_f16_e32 v108, 0xbbad, v59
	v_fma_f16 v7, v73, 0xb93d, -v62
	v_add_f16_e32 v2, v66, v13
	v_fmac_f16_e32 v96, 0xb93d, v95
	v_add_f16_e32 v5, v5, v6
	v_add_f16_e32 v0, v3, v0
	;; [unrolled: 1-line block ×3, first 2 shown]
	v_fmac_f16_e32 v122, 0x3abb, v95
	v_add_f16_e32 v31, v79, v31
	v_fma_f16 v79, v73, 0xb08e, -v104
	v_add_f16_e32 v57, v108, v93
	v_fmac_f16_e32 v110, 0xb08e, v95
	v_add_f16_e32 v1, v7, v1
	v_fma_f16 v3, v94, 0xbbad, -v81
	v_add_f16_e32 v2, v96, v2
	v_add_f16_e32 v5, v54, v5
	v_mul_u32_u24_e32 v6, 0xb0, v53
	v_add_f16_e32 v0, v4, v0
	v_fmac_f16_e32 v102, 0xbbad, v101
	v_fmac_f16_e64 v133, 0xbbad, v95
	v_add_f16_e32 v78, v122, v78
	v_fmac_f16_e32 v118, 0xb93d, v101
	v_add_f16_e32 v31, v79, v31
	v_fma_f16 v29, v94, 0x3abb, -v98
	v_add_f16_e32 v24, v110, v57
	v_add_f16_e32 v1, v3, v1
	;; [unrolled: 1-line block ×3, first 2 shown]
	v_or_b32_e32 v4, v6, v52
	v_add_f16_e32 v0, v14, v0
	v_add_f16_e32 v2, v102, v2
	v_fmac_f16_e32 v106, 0x3abb, v101
	v_fmac_f16_e32 v58, 0xb08e, v101
	v_add_f16_e64 v74, v133, v74
	v_fmac_f16_e64 v130, 0x36a6, v101
	v_add_f16_e32 v5, v29, v31
	v_lshlrev_b32_e32 v4, 2, v4
	v_pack_b32_f16 v0, v3, v0
	v_pack_b32_f16 v1, v2, v1
	v_add_f16_e32 v2, v106, v24
	v_add_f16_e32 v3, v118, v78
	v_add_f16_e64 v6, v130, v74
	v_add_f16_e32 v7, v58, v27
	v_add_f16_e64 v134, v137, v134
	ds_store_2addr_b32 v4, v0, v1 offset1:16
	v_pack_b32_f16 v0, v2, v5
	v_pack_b32_f16 v1, v3, v75
	;; [unrolled: 1-line block ×9, first 2 shown]
	ds_store_2addr_b32 v4, v0, v1 offset0:32 offset1:48
	ds_store_2addr_b32 v4, v2, v3 offset0:64 offset1:80
	ds_store_2addr_b32 v4, v5, v6 offset0:96 offset1:112
	ds_store_2addr_b32 v4, v7, v13 offset0:128 offset1:144
	ds_store_b32 v4, v14 offset:640
.LBB0_37:
	s_wait_alu 0xfffe
	s_or_b32 exec_lo, exec_lo, s0
	v_add_nc_u32_e32 v13, 0x500, v34
	v_add_nc_u32_e32 v14, 0x1000, v34
	;; [unrolled: 1-line block ×3, first 2 shown]
	global_wb scope:SCOPE_SE
	s_wait_dscnt 0x0
	s_barrier_signal -1
	s_barrier_wait -1
	global_inv scope:SCOPE_SE
	ds_load_2addr_b32 v[0:1], v34 offset1:176
	ds_load_b32 v24, v34 offset:5632
	ds_load_2addr_b32 v[2:3], v13 offset0:32 offset1:208
	ds_load_2addr_b32 v[4:5], v14 offset0:32 offset1:208
	;; [unrolled: 1-line block ×3, first 2 shown]
	global_wb scope:SCOPE_SE
	s_wait_dscnt 0x0
	s_barrier_signal -1
	s_barrier_wait -1
	global_inv scope:SCOPE_SE
	s_mov_b32 s10, 0xa052bf5b
	s_mov_b32 s11, 0x3f44afd6
	v_lshrrev_b32_e32 v27, 16, v24
	v_lshrrev_b32_e32 v28, 16, v3
	;; [unrolled: 1-line block ×3, first 2 shown]
	v_mul_f16_e32 v52, v89, v3
	v_lshrrev_b32_e32 v30, 16, v6
	v_lshrrev_b32_e32 v31, 16, v5
	;; [unrolled: 1-line block ×3, first 2 shown]
	v_mul_f16_e32 v53, v90, v4
	v_mul_f16_e32 v54, v89, v6
	;; [unrolled: 1-line block ×3, first 2 shown]
	v_fma_f16 v28, v8, v28, -v52
	v_mul_f16_e32 v52, v90, v29
	v_mul_f16_e32 v55, v90, v5
	v_fma_f16 v29, v9, v29, -v53
	v_mul_f16_e32 v53, v89, v30
	v_fma_f16 v30, v8, v30, -v54
	v_mul_f16_e32 v54, v90, v31
	v_mul_f16_e32 v57, v92, v33
	v_fmac_f16_e32 v56, v8, v3
	v_fmac_f16_e32 v52, v9, v4
	v_lshrrev_b32_e32 v25, 16, v0
	v_fmac_f16_e32 v54, v9, v5
	v_mul_f16_e32 v3, v92, v7
	v_fma_f16 v4, v9, v31, -v55
	v_fmac_f16_e32 v57, v15, v7
	v_add_f16_e32 v7, v56, v52
	v_add_f16_e32 v9, v28, v29
	v_fmac_f16_e32 v53, v8, v6
	v_mul_f16_e32 v5, v91, v27
	v_mul_f16_e32 v6, v91, v24
	v_fma_f16 v3, v15, v33, -v3
	v_add_f16_e32 v8, v0, v56
	v_fma_f16 v0, -0.5, v7, v0
	v_sub_f16_e32 v7, v28, v29
	v_add_f16_e32 v15, v25, v28
	v_fmac_f16_e32 v25, -0.5, v9
	v_sub_f16_e32 v9, v56, v52
	v_lshrrev_b32_e32 v26, 16, v1
	v_fmac_f16_e32 v5, v16, v24
	v_fma_f16 v6, v16, v27, -v6
	v_fmamk_f16 v16, v7, 0xbaee, v0
	v_fmac_f16_e32 v0, 0x3aee, v7
	v_add_f16_e32 v7, v15, v29
	v_add_f16_e32 v15, v53, v54
	v_fmamk_f16 v24, v9, 0x3aee, v25
	v_fmac_f16_e32 v25, 0xbaee, v9
	v_add_f16_e32 v9, v30, v4
	v_add_f16_e32 v27, v1, v53
	v_fmac_f16_e32 v1, -0.5, v15
	v_sub_f16_e32 v15, v30, v4
	v_add_f16_e32 v28, v26, v30
	v_fmac_f16_e32 v26, -0.5, v9
	v_sub_f16_e32 v9, v53, v54
	v_lshrrev_b32_e32 v32, 16, v2
	v_fmamk_f16 v29, v15, 0xbaee, v1
	v_fmac_f16_e32 v1, 0x3aee, v15
	v_add_f16_e32 v4, v28, v4
	v_add_f16_e32 v15, v57, v5
	v_fmamk_f16 v28, v9, 0x3aee, v26
	v_fmac_f16_e32 v26, 0xbaee, v9
	v_add_f16_e32 v9, v3, v6
	v_add_f16_e32 v30, v2, v57
	v_fmac_f16_e32 v2, -0.5, v15
	v_sub_f16_e32 v15, v3, v6
	v_add_f16_e32 v3, v32, v3
	v_fmac_f16_e32 v32, -0.5, v9
	v_sub_f16_e32 v9, v57, v5
	v_add_f16_e32 v8, v8, v52
	v_add_f16_e32 v27, v27, v54
	;; [unrolled: 1-line block ×3, first 2 shown]
	v_fmamk_f16 v30, v15, 0xbaee, v2
	v_add_f16_e32 v3, v3, v6
	v_fmamk_f16 v6, v9, 0x3aee, v32
	v_fmac_f16_e32 v2, 0x3aee, v15
	v_fmac_f16_e32 v32, 0xbaee, v9
	v_pack_b32_f16 v7, v8, v7
	v_pack_b32_f16 v8, v16, v24
	v_pack_b32_f16 v0, v0, v25
	v_pack_b32_f16 v4, v27, v4
	v_pack_b32_f16 v9, v29, v28
	v_pack_b32_f16 v1, v1, v26
	v_pack_b32_f16 v3, v5, v3
	v_pack_b32_f16 v5, v30, v6
	v_add_nc_u32_e32 v6, 0x1000, v82
	v_pack_b32_f16 v2, v2, v32
	ds_store_2addr_b32 v34, v7, v8 offset1:176
	ds_store_2addr_b32 v13, v0, v4 offset0:32 offset1:208
	ds_store_2addr_b32 v23, v9, v1 offset0:64 offset1:240
	ds_store_2addr_b32 v6, v3, v5 offset0:32 offset1:208
	ds_store_b32 v82, v2 offset:5632
	global_wb scope:SCOPE_SE
	s_wait_dscnt 0x0
	s_barrier_signal -1
	s_barrier_wait -1
	global_inv scope:SCOPE_SE
	ds_load_2addr_b32 v[0:1], v34 offset1:176
	ds_load_2addr_b32 v[2:3], v13 offset0:32 offset1:208
	ds_load_2addr_b32 v[4:5], v14 offset0:32 offset1:208
	;; [unrolled: 1-line block ×3, first 2 shown]
	ds_load_b32 v8, v34 offset:5632
	s_wait_dscnt 0x4
	v_lshrrev_b32_e32 v9, 16, v0
	s_wait_dscnt 0x3
	v_lshrrev_b32_e32 v13, 16, v3
	;; [unrolled: 2-line block ×4, first 2 shown]
	v_lshrrev_b32_e32 v24, 16, v5
	v_mul_f16_e32 v28, v88, v3
	v_mul_f16_e32 v26, v88, v13
	;; [unrolled: 1-line block ×3, first 2 shown]
	v_lshrrev_b32_e32 v27, 16, v7
	s_wait_dscnt 0x0
	v_lshrrev_b32_e32 v29, 16, v8
	v_fma_f16 v13, v21, v13, -v28
	v_fmac_f16_e32 v26, v21, v3
	v_mul_f16_e32 v3, v87, v4
	v_mul_f16_e32 v21, v86, v16
	v_fmac_f16_e32 v30, v22, v4
	v_mul_f16_e32 v4, v86, v6
	v_lshrrev_b32_e32 v15, 16, v1
	v_fma_f16 v3, v22, v14, -v3
	v_mul_f16_e32 v14, v85, v24
	v_fmac_f16_e32 v21, v19, v6
	v_mul_f16_e32 v6, v85, v5
	v_fma_f16 v4, v19, v16, -v4
	v_mul_f16_e32 v16, v84, v27
	v_fmac_f16_e32 v14, v20, v5
	v_mul_f16_e32 v5, v84, v7
	v_mul_f16_e32 v19, v83, v29
	v_fma_f16 v6, v20, v24, -v6
	v_fmac_f16_e32 v16, v17, v7
	v_mul_f16_e32 v7, v83, v8
	v_fma_f16 v5, v17, v27, -v5
	v_add_f16_e32 v17, v26, v30
	v_fmac_f16_e32 v19, v18, v8
	v_add_f16_e32 v8, v0, v26
	v_fma_f16 v7, v18, v29, -v7
	v_add_f16_e32 v18, v13, v3
	v_fma_f16 v0, -0.5, v17, v0
	v_sub_f16_e32 v17, v13, v3
	v_add_f16_e32 v13, v9, v13
	v_add_f16_e32 v22, v1, v21
	v_fmac_f16_e32 v9, -0.5, v18
	v_sub_f16_e32 v18, v26, v30
	v_lshrrev_b32_e32 v25, 16, v2
	v_add_f16_e32 v3, v13, v3
	v_add_f16_e32 v13, v21, v14
	v_fmamk_f16 v20, v17, 0xbaee, v0
	v_fmac_f16_e32 v0, 0x3aee, v17
	v_fmamk_f16 v17, v18, 0x3aee, v9
	v_fmac_f16_e32 v9, 0xbaee, v18
	v_add_f16_e32 v18, v4, v6
	v_fmac_f16_e32 v1, -0.5, v13
	v_sub_f16_e32 v13, v4, v6
	v_add_f16_e32 v22, v22, v14
	v_sub_f16_e32 v14, v21, v14
	v_add_f16_e32 v21, v16, v19
	v_add_f16_e32 v24, v5, v7
	;; [unrolled: 1-line block ×3, first 2 shown]
	v_fmac_f16_e32 v15, -0.5, v18
	v_fmamk_f16 v18, v13, 0xbaee, v1
	v_fmac_f16_e32 v1, 0x3aee, v13
	v_add_f16_e32 v13, v2, v16
	v_fmac_f16_e32 v2, -0.5, v21
	v_sub_f16_e32 v21, v5, v7
	v_add_f16_e32 v5, v25, v5
	v_fmac_f16_e32 v25, -0.5, v24
	v_sub_f16_e32 v16, v16, v19
	v_add_f16_e32 v8, v8, v30
	v_add_f16_e32 v4, v4, v6
	;; [unrolled: 1-line block ×3, first 2 shown]
	v_pack_b32_f16 v7, v20, v17
	v_fmamk_f16 v6, v14, 0x3aee, v15
	v_fmac_f16_e32 v15, 0xbaee, v14
	v_pack_b32_f16 v0, v0, v9
	v_add_f16_e32 v13, v13, v19
	v_fmamk_f16 v14, v21, 0xbaee, v2
	v_fmamk_f16 v9, v16, 0x3aee, v25
	v_fmac_f16_e32 v2, 0x3aee, v21
	v_fmac_f16_e32 v25, 0xbaee, v16
	v_pack_b32_f16 v3, v8, v3
	ds_store_b32 v34, v7 offset:2112
	ds_store_b32 v34, v0 offset:4224
	v_pack_b32_f16 v0, v22, v4
	v_pack_b32_f16 v1, v1, v15
	;; [unrolled: 1-line block ×6, first 2 shown]
	ds_store_2addr_b32 v34, v3, v0 offset1:176
	ds_store_b32 v34, v1 offset:4928
	ds_store_b32 v34, v5 offset:1408
	ds_store_2addr_b32 v23, v4, v6 offset0:64 offset1:240
	ds_store_b32 v34, v2 offset:5632
	global_wb scope:SCOPE_SE
	s_wait_dscnt 0x0
	s_barrier_signal -1
	s_barrier_wait -1
	global_inv scope:SCOPE_SE
	ds_load_2addr_b32 v[5:6], v34 offset1:176
	v_mad_co_u64_u32 v[15:16], null, s6, v12, 0
	s_wait_dscnt 0x0
	v_lshrrev_b32_e32 v2, 16, v5
	v_mul_f16_e32 v3, v51, v5
	s_delay_alu instid0(VALU_DEP_2) | instskip(NEXT) | instid1(VALU_DEP_2)
	v_mul_f16_e32 v0, v51, v2
	v_fma_f16 v2, v50, v2, -v3
	s_delay_alu instid0(VALU_DEP_2) | instskip(NEXT) | instid1(VALU_DEP_2)
	v_fmac_f16_e32 v0, v50, v5
	v_cvt_f32_f16_e32 v2, v2
	s_delay_alu instid0(VALU_DEP_2) | instskip(NEXT) | instid1(VALU_DEP_2)
	v_cvt_f32_f16_e32 v0, v0
	v_cvt_f64_f32_e32 v[4:5], v2
	v_add_nc_u32_e32 v2, 0x600, v34
	s_delay_alu instid0(VALU_DEP_3)
	v_cvt_f64_f32_e32 v[0:1], v0
	ds_load_2addr_b32 v[2:3], v2 offset0:12 offset1:188
	s_wait_dscnt 0x0
	v_lshrrev_b32_e32 v9, 16, v2
	s_wait_alu 0xfffe
	v_mul_f64_e32 v[4:5], s[10:11], v[4:5]
	v_mul_f64_e32 v[7:8], s[10:11], v[0:1]
	s_delay_alu instid0(VALU_DEP_3) | instskip(NEXT) | instid1(VALU_DEP_1)
	v_mul_f16_e32 v0, v49, v9
	v_fmac_f16_e32 v0, v48, v2
	v_mul_f16_e32 v2, v49, v2
	s_delay_alu instid0(VALU_DEP_2) | instskip(NEXT) | instid1(VALU_DEP_2)
	v_cvt_f32_f16_e32 v0, v0
	v_fma_f16 v2, v48, v9, -v2
	s_delay_alu instid0(VALU_DEP_2)
	v_cvt_f64_f32_e32 v[13:14], v0
	v_and_or_b32 v4, 0x1ff, v5, v4
	v_lshrrev_b32_e32 v19, 8, v5
	v_bfe_u32 v22, v5, 20, 11
	v_and_or_b32 v0, 0x1ff, v8, v7
	v_lshrrev_b32_e32 v1, 8, v8
	v_bfe_u32 v7, v8, 20, 11
	v_lshrrev_b32_e32 v8, 16, v8
	s_delay_alu instid0(VALU_DEP_4) | instskip(NEXT) | instid1(VALU_DEP_3)
	v_cmp_ne_u32_e64 s0, 0, v0
	v_sub_nc_u32_e32 v17, 0x3f1, v7
	v_add_nc_u32_e32 v7, 0xfffffc10, v7
	s_wait_alu 0xf1ff
	s_delay_alu instid0(VALU_DEP_3) | instskip(SKIP_2) | instid1(VALU_DEP_3)
	v_cndmask_b32_e64 v0, 0, 1, s0
	v_cmp_ne_u32_e64 s0, 0, v4
	v_med3_i32 v17, v17, 0, 13
	v_and_or_b32 v21, 0xffe, v1, v0
	s_wait_alu 0xf1ff
	s_delay_alu instid0(VALU_DEP_3) | instskip(SKIP_3) | instid1(VALU_DEP_4)
	v_cndmask_b32_e64 v4, 0, 1, s0
	v_mul_f64_e32 v[13:14], s[10:11], v[13:14]
	v_add_nc_u32_e32 v0, 0xc00, v34
	v_or_b32_e32 v18, 0x1000, v21
	v_and_or_b32 v4, 0xffe, v19, v4
	v_lshl_or_b32 v24, v7, 12, v21
	ds_load_2addr_b32 v[0:1], v0 offset0:24 offset1:200
	v_cmp_ne_u32_e64 s2, 0, v21
	v_lshrrev_b32_e32 v20, v17, v18
	v_or_b32_e32 v23, 0x1000, v4
	s_delay_alu instid0(VALU_DEP_2) | instskip(SKIP_2) | instid1(VALU_DEP_3)
	v_lshlrev_b32_e32 v9, v17, v20
	v_sub_nc_u32_e32 v17, 0x3f1, v22
	v_add_nc_u32_e32 v22, 0xfffffc10, v22
	v_cmp_ne_u32_e64 s0, v9, v18
	s_delay_alu instid0(VALU_DEP_3)
	v_med3_i32 v19, v17, 0, 13
	v_cvt_f32_f16_e32 v17, v2
	v_mov_b32_e32 v2, v16
	s_wait_alu 0xf1ff
	v_cndmask_b32_e64 v9, 0, 1, s0
	v_lshrrev_b32_e32 v16, v19, v23
	v_cmp_gt_i32_e64 s0, 1, v7
	v_cvt_f64_f32_e32 v[17:18], v17
	s_wait_dscnt 0x0
	v_lshrrev_b32_e32 v25, 16, v0
	v_or_b32_e32 v9, v20, v9
	s_wait_alu 0xf1ff
	s_delay_alu instid0(VALU_DEP_1) | instskip(SKIP_3) | instid1(VALU_DEP_4)
	v_cndmask_b32_e64 v9, v24, v9, s0
	v_lshlrev_b32_e32 v24, v19, v16
	v_mad_co_u64_u32 v[19:20], null, s7, v12, v[2:3]
	v_lshl_or_b32 v12, v22, 12, v4
	v_and_b32_e32 v2, 7, v9
	s_delay_alu instid0(VALU_DEP_4) | instskip(SKIP_1) | instid1(VALU_DEP_3)
	v_cmp_ne_u32_e64 s0, v24, v23
	v_bfe_u32 v21, v14, 20, 11
	v_cmp_eq_u32_e64 s1, 3, v2
	s_wait_alu 0xf1ff
	s_delay_alu instid0(VALU_DEP_3) | instskip(SKIP_3) | instid1(VALU_DEP_4)
	v_cndmask_b32_e64 v20, 0, 1, s0
	v_cmp_lt_i32_e64 s0, 5, v2
	v_lshrrev_b32_e32 v2, 2, v9
	v_cndmask_b32_e64 v9, 0, 1, s2
	v_or_b32_e32 v16, v16, v20
	s_delay_alu instid0(VALU_DEP_4)
	s_or_b32 s0, s1, s0
	v_mul_f16_e32 v20, v47, v25
	s_wait_alu 0xfffe
	v_add_co_ci_u32_e64 v2, s0, 0, v2, s0
	v_cmp_gt_i32_e64 s0, 1, v22
	v_lshl_or_b32 v9, v9, 9, 0x7c00
	v_fmac_f16_e32 v20, v46, v0
	v_mul_f16_e32 v0, v47, v0
	s_wait_alu 0xf1ff
	v_cndmask_b32_e64 v12, v12, v16, s0
	v_cmp_gt_i32_e64 s0, 31, v7
	v_mov_b32_e32 v16, v19
	v_fma_f16 v0, v46, v25, -v0
	s_delay_alu instid0(VALU_DEP_4)
	v_and_b32_e32 v19, 7, v12
	s_wait_alu 0xf1ff
	v_cndmask_b32_e64 v2, 0x7c00, v2, s0
	v_cmp_eq_u32_e64 s0, 0x40f, v7
	v_cvt_f32_f16_e32 v0, v0
	v_lshlrev_b64_e32 v[15:16], 2, v[15:16]
	v_cmp_eq_u32_e64 s1, 3, v19
	s_wait_alu 0xf1ff
	v_cndmask_b32_e64 v7, v2, v9, s0
	v_and_or_b32 v2, 0x1ff, v14, v13
	v_cmp_lt_i32_e64 s0, 5, v19
	v_cvt_f32_f16_e32 v19, v20
	v_lshrrev_b32_e32 v9, 2, v12
	v_mul_f64_e32 v[12:13], s[10:11], v[17:18]
	v_cmp_ne_u32_e64 s2, 0, v2
	v_lshrrev_b32_e32 v20, 8, v14
	v_cvt_f64_f32_e32 v[17:18], v19
	s_or_b32 s0, s1, s0
	v_lshrrev_b32_e32 v14, 16, v14
	v_cndmask_b32_e64 v2, 0, 1, s2
	s_wait_alu 0xfffe
	v_add_co_ci_u32_e64 v9, s0, 0, v9, s0
	v_cmp_ne_u32_e64 s0, 0, v4
	s_mul_u64 s[2:3], s[4:5], 0x18c
	v_and_or_b32 v23, 0xffe, v20, v2
	v_sub_nc_u32_e32 v2, 0x3f1, v21
	v_mad_co_u64_u32 v[19:20], null, s4, v44, 0
	s_wait_alu 0xf1ff
	v_cndmask_b32_e64 v4, 0, 1, s0
	v_or_b32_e32 v24, 0x1000, v23
	v_med3_i32 v26, v2, 0, 13
	v_cmp_gt_i32_e64 s0, 31, v22
	s_wait_alu 0xfffe
	s_lshl_b64 s[16:17], s[2:3], 2
	v_lshl_or_b32 v4, v4, 9, 0x7c00
	v_mov_b32_e32 v2, v20
	v_lshrrev_b32_e32 v27, v26, v24
	v_cndmask_b32_e64 v9, 0x7c00, v9, s0
	v_cmp_eq_u32_e64 s0, 0x40f, v22
	v_lshrrev_b32_e32 v20, 16, v5
	s_delay_alu instid0(VALU_DEP_4) | instskip(SKIP_1) | instid1(VALU_DEP_3)
	v_lshlrev_b32_e32 v22, v26, v27
	s_wait_alu 0xf1ff
	v_cndmask_b32_e64 v9, v9, v4, s0
	v_mad_co_u64_u32 v[4:5], null, s5, v44, v[2:3]
	s_delay_alu instid0(VALU_DEP_3) | instskip(SKIP_1) | instid1(VALU_DEP_4)
	v_cmp_ne_u32_e64 s0, v22, v24
	v_and_or_b32 v2, 0x8000, v8, v7
	v_and_or_b32 v5, 0x8000, v20, v9
	v_add_nc_u32_e32 v9, 0xfffffc10, v21
	s_wait_alu 0xf1ff
	v_cndmask_b32_e64 v7, 0, 1, s0
	v_mov_b32_e32 v20, v4
	v_and_or_b32 v12, 0x1ff, v13, v12
	v_lshl_or_b32 v21, v9, 12, v23
	v_cmp_gt_i32_e64 s0, 1, v9
	v_or_b32_e32 v4, v27, v7
	v_mul_f64_e32 v[7:8], s[10:11], v[17:18]
	v_cvt_f64_f32_e32 v[17:18], v0
	v_and_b32_e32 v2, 0xffff, v2
	v_bfe_u32 v22, v13, 20, 11
	s_wait_alu 0xf1ff
	v_cndmask_b32_e64 v21, v21, v4, s0
	v_cmp_ne_u32_e64 s0, 0, v12
	v_lshrrev_b32_e32 v4, 8, v13
	v_add_nc_u32_e32 v12, 0x1200, v34
	v_lshl_or_b32 v2, v5, 16, v2
	v_and_b32_e32 v24, 7, v21
	s_wait_alu 0xf1ff
	v_cndmask_b32_e64 v0, 0, 1, s0
	v_lshrrev_b32_e32 v21, 2, v21
	v_lshrrev_b32_e32 v13, 16, v13
	v_cmp_lt_i32_e64 s0, 5, v24
	s_delay_alu instid0(VALU_DEP_4) | instskip(SKIP_4) | instid1(VALU_DEP_3)
	v_and_or_b32 v0, 0xffe, v4, v0
	ds_load_2addr_b32 v[4:5], v12 offset0:36 offset1:212
	v_sub_nc_u32_e32 v12, 0x3f1, v22
	v_cmp_eq_u32_e64 s1, 3, v24
	v_or_b32_e32 v24, 0x1000, v0
	v_med3_i32 v12, v12, 0, 13
	s_delay_alu instid0(VALU_DEP_3) | instskip(SKIP_2) | instid1(VALU_DEP_2)
	s_or_b32 s0, s1, s0
	s_wait_alu 0xfffe
	v_add_co_ci_u32_e64 v21, s0, 0, v21, s0
	v_lshrrev_b32_e32 v25, v12, v24
	v_add_co_u32 v26, s0, s8, v15
	s_wait_alu 0xf1ff
	v_add_co_ci_u32_e64 v27, s0, s9, v16, s0
	s_delay_alu instid0(VALU_DEP_3)
	v_lshlrev_b32_e32 v12, v12, v25
	v_cmp_gt_i32_e64 s0, 31, v9
	v_lshlrev_b64_e32 v[15:16], 2, v[19:20]
	s_wait_dscnt 0x0
	v_lshrrev_b32_e32 v28, 16, v4
	s_wait_alu 0xf1ff
	v_cndmask_b32_e64 v21, 0x7c00, v21, s0
	v_cmp_ne_u32_e64 s0, v12, v24
	v_and_or_b32 v7, 0x1ff, v8, v7
	v_add_nc_u32_e32 v24, 0xfffffc10, v22
	v_mul_f64_e32 v[17:18], s[10:11], v[17:18]
	v_mul_f16_e32 v20, v45, v28
	s_wait_alu 0xf1ff
	v_cndmask_b32_e64 v12, 0, 1, s0
	v_cmp_ne_u32_e64 s0, 0, v23
	v_lshl_or_b32 v22, v24, 12, v0
	v_lshrrev_b32_e32 v23, 8, v8
	v_fmac_f16_e32 v20, v43, v4
	v_or_b32_e32 v12, v25, v12
	s_wait_alu 0xf1ff
	v_cndmask_b32_e64 v19, 0, 1, s0
	v_cmp_ne_u32_e64 s0, 0, v7
	v_bfe_u32 v25, v8, 20, 11
	v_cvt_f32_f16_e32 v20, v20
	v_mul_f16_e32 v4, v45, v4
	s_wait_alu 0xf1ff
	v_cndmask_b32_e64 v7, 0, 1, s0
	v_cmp_gt_i32_e64 s0, 1, v24
	s_delay_alu instid0(VALU_DEP_3) | instskip(NEXT) | instid1(VALU_DEP_3)
	v_fma_f16 v4, v43, v28, -v4
	v_and_or_b32 v7, 0xffe, v23, v7
	s_wait_alu 0xf1ff
	s_delay_alu instid0(VALU_DEP_3)
	v_cndmask_b32_e64 v12, v22, v12, s0
	v_add_co_u32 v15, s0, v26, v15
	v_sub_nc_u32_e32 v22, 0x3f1, v25
	s_wait_alu 0xf1ff
	v_add_co_ci_u32_e64 v16, s0, v27, v16, s0
	v_lshl_or_b32 v23, v19, 9, 0x7c00
	v_and_b32_e32 v29, 7, v12
	v_cmp_eq_u32_e64 s0, 0x40f, v9
	v_or_b32_e32 v30, 0x1000, v7
	v_med3_i32 v22, v22, 0, 13
	v_cvt_f64_f32_e32 v[19:20], v20
	v_cmp_eq_u32_e64 s1, 3, v29
	s_wait_alu 0xf1ff
	v_cndmask_b32_e64 v9, v21, v23, s0
	v_cmp_lt_i32_e64 s0, 5, v29
	v_lshrrev_b32_e32 v12, 2, v12
	v_lshrrev_b32_e32 v23, v22, v30
	v_cvt_f32_f16_e32 v4, v4
	v_and_or_b32 v17, 0x1ff, v18, v17
	s_or_b32 s0, s1, s0
	v_add_nc_u32_e32 v25, 0xfffffc10, v25
	s_wait_alu 0xfffe
	v_add_co_ci_u32_e64 v12, s0, 0, v12, s0
	v_lshlrev_b32_e32 v21, v22, v23
	v_cmp_ne_u32_e64 s0, 0, v0
	v_bfe_u32 v27, v18, 20, 11
	v_and_or_b32 v9, 0x8000, v14, v9
	s_wait_alu 0xf1ff
	s_delay_alu instid0(VALU_DEP_3) | instskip(SKIP_3) | instid1(VALU_DEP_4)
	v_cndmask_b32_e64 v0, 0, 1, s0
	v_cmp_ne_u32_e64 s0, v21, v30
	v_cvt_f64_f32_e32 v[21:22], v4
	v_and_b32_e32 v9, 0xffff, v9
	v_lshl_or_b32 v0, v0, 9, 0x7c00
	s_wait_alu 0xf1ff
	v_cndmask_b32_e64 v26, 0, 1, s0
	v_cmp_gt_i32_e64 s0, 31, v24
	s_wait_alu 0xf1ff
	s_delay_alu instid0(VALU_DEP_1)
	v_cndmask_b32_e64 v4, 0x7c00, v12, s0
	v_cmp_ne_u32_e64 s0, 0, v17
	v_or_b32_e32 v12, v23, v26
	v_lshrrev_b32_e32 v26, 8, v18
	v_lshl_or_b32 v23, v25, 12, v7
	v_lshrrev_b32_e32 v18, 16, v18
	s_wait_alu 0xf1ff
	v_cndmask_b32_e64 v17, 0, 1, s0
	v_cmp_eq_u32_e64 s0, 0x40f, v24
	v_mul_f64_e32 v[19:20], s[10:11], v[19:20]
	s_wait_alu 0xf1ff
	s_delay_alu instid0(VALU_DEP_2) | instskip(SKIP_3) | instid1(VALU_DEP_4)
	v_cndmask_b32_e64 v0, v4, v0, s0
	v_cmp_gt_i32_e64 s0, 1, v25
	v_and_or_b32 v4, 0xffe, v26, v17
	v_sub_nc_u32_e32 v17, 0x3f1, v27
	v_and_or_b32 v0, 0x8000, v13, v0
	s_wait_alu 0xf1ff
	v_cndmask_b32_e64 v12, v23, v12, s0
	v_or_b32_e32 v14, 0x1000, v4
	v_med3_i32 v17, v17, 0, 13
	v_lshl_or_b32 v0, v0, 16, v9
	s_delay_alu instid0(VALU_DEP_4) | instskip(SKIP_1) | instid1(VALU_DEP_4)
	v_and_b32_e32 v23, 7, v12
	v_lshrrev_b32_e32 v9, 2, v12
	v_lshrrev_b32_e32 v24, v17, v14
	s_delay_alu instid0(VALU_DEP_3) | instskip(SKIP_1) | instid1(VALU_DEP_3)
	v_cmp_lt_i32_e64 s0, 5, v23
	v_cmp_eq_u32_e64 s1, 3, v23
	v_lshlrev_b32_e32 v12, v17, v24
	v_add_nc_u32_e32 v17, 0xfffffc10, v27
	v_lshrrev_b32_e32 v23, 16, v8
	s_delay_alu instid0(VALU_DEP_4)
	s_or_b32 s0, s1, s0
	s_wait_alu 0xfffe
	v_add_co_ci_u32_e64 v9, s0, 0, v9, s0
	v_cmp_ne_u32_e64 s0, v12, v14
	v_mul_f64_e32 v[12:13], s[10:11], v[21:22]
	v_lshl_or_b32 v21, v17, 12, v4
	v_lshrrev_b32_e32 v22, 16, v6
	s_wait_alu 0xf1ff
	v_cndmask_b32_e64 v14, 0, 1, s0
	v_cmp_ne_u32_e64 s0, 0, v7
	v_and_or_b32 v19, 0x1ff, v20, v19
	s_delay_alu instid0(VALU_DEP_3) | instskip(SKIP_1) | instid1(VALU_DEP_3)
	v_or_b32_e32 v14, v24, v14
	s_wait_alu 0xf1ff
	v_cndmask_b32_e64 v7, 0, 1, s0
	v_cmp_gt_i32_e64 s0, 31, v25
	v_bfe_u32 v24, v20, 20, 11
	s_delay_alu instid0(VALU_DEP_3) | instskip(SKIP_1) | instid1(VALU_DEP_3)
	v_lshl_or_b32 v7, v7, 9, 0x7c00
	s_wait_alu 0xf1ff
	v_cndmask_b32_e64 v9, 0x7c00, v9, s0
	v_cmp_gt_i32_e64 s0, 1, v17
	s_wait_alu 0xf1ff
	s_delay_alu instid0(VALU_DEP_1) | instskip(SKIP_4) | instid1(VALU_DEP_4)
	v_cndmask_b32_e64 v14, v21, v14, s0
	v_mul_f16_e32 v21, v42, v22
	v_cmp_eq_u32_e64 s0, 0x40f, v25
	v_sub_nc_u32_e32 v25, 0x3f1, v24
	v_add_nc_u32_e32 v24, 0xfffffc10, v24
	v_fmac_f16_e32 v21, v41, v6
	s_wait_alu 0xf1ff
	v_cndmask_b32_e64 v9, v9, v7, s0
	v_cmp_ne_u32_e64 s0, 0, v19
	v_and_b32_e32 v7, 7, v14
	v_lshrrev_b32_e32 v19, 8, v20
	v_cvt_f32_f16_e32 v21, v21
	v_and_or_b32 v23, 0x8000, v23, v9
	s_wait_alu 0xf1ff
	v_cndmask_b32_e64 v8, 0, 1, s0
	v_cmp_lt_i32_e64 s0, 5, v7
	v_cmp_eq_u32_e64 s1, 3, v7
	v_lshrrev_b32_e32 v9, 2, v14
	v_mul_f16_e32 v6, v42, v6
	v_and_or_b32 v19, 0xffe, v19, v8
	v_cvt_f64_f32_e32 v[7:8], v21
	s_or_b32 s0, s1, s0
	v_med3_i32 v21, v25, 0, 13
	s_wait_alu 0xfffe
	v_add_co_ci_u32_e64 v9, s0, 0, v9, s0
	v_or_b32_e32 v14, 0x1000, v19
	v_cmp_ne_u32_e64 s0, 0, v4
	v_and_or_b32 v12, 0x1ff, v13, v12
	v_fma_f16 v6, v41, v22, -v6
	v_bfe_u32 v27, v13, 20, 11
	v_lshrrev_b32_e32 v25, v21, v14
	s_wait_alu 0xf1ff
	v_cndmask_b32_e64 v4, 0, 1, s0
	v_cmp_gt_i32_e64 s0, 31, v17
	v_cvt_f32_f16_e32 v6, v6
	v_lshrrev_b32_e32 v26, 8, v13
	v_lshlrev_b32_e32 v21, v21, v25
	v_lshl_or_b32 v4, v4, 9, 0x7c00
	s_wait_alu 0xf1ff
	v_cndmask_b32_e64 v9, 0x7c00, v9, s0
	v_cmp_ne_u32_e64 s0, 0, v12
	v_lshrrev_b32_e32 v20, 16, v20
	s_wait_alu 0xf1ff
	s_delay_alu instid0(VALU_DEP_2) | instskip(SKIP_3) | instid1(VALU_DEP_4)
	v_cndmask_b32_e64 v12, 0, 1, s0
	v_cmp_ne_u32_e64 s0, v21, v14
	v_cvt_f64_f32_e32 v[21:22], v6
	v_sub_nc_u32_e32 v6, 0x3f1, v27
	v_and_or_b32 v12, 0xffe, v26, v12
	s_wait_alu 0xf1ff
	v_cndmask_b32_e64 v14, 0, 1, s0
	v_cmp_eq_u32_e64 s0, 0x40f, v17
	s_delay_alu instid0(VALU_DEP_3) | instskip(SKIP_1) | instid1(VALU_DEP_2)
	v_or_b32_e32 v17, 0x1000, v12
	s_wait_alu 0xf1ff
	v_cndmask_b32_e64 v4, v9, v4, s0
	v_or_b32_e32 v9, v25, v14
	v_med3_i32 v25, v6, 0, 13
	v_mul_f64_e32 v[6:7], s[10:11], v[7:8]
	v_lshl_or_b32 v14, v24, 12, v19
	v_cmp_gt_i32_e64 s0, 1, v24
	v_and_or_b32 v4, 0x8000, v18, v4
	v_lshrrev_b32_e32 v26, v25, v17
	v_and_b32_e32 v18, 0xffff, v23
	s_wait_alu 0xf1ff
	v_cndmask_b32_e64 v14, v14, v9, s0
	v_add_co_u32 v8, s0, v15, s16
	v_lshlrev_b32_e32 v25, v25, v26
	s_wait_alu 0xf1ff
	v_add_co_ci_u32_e64 v9, s0, s17, v16, s0
	v_and_b32_e32 v23, 7, v14
	s_clause 0x1
	global_store_b32 v[15:16], v2, off
	global_store_b32 v[8:9], v0, off
	v_cmp_ne_u32_e64 s1, v25, v17
	v_lshrrev_b32_e32 v14, 2, v14
	v_cmp_lt_i32_e64 s0, 5, v23
	v_lshl_or_b32 v0, v4, 16, v18
	v_add_nc_u32_e32 v4, 0xfffffc10, v27
	s_wait_alu 0xf1ff
	v_cndmask_b32_e64 v2, 0, 1, s1
	v_cmp_eq_u32_e64 s1, 3, v23
	v_lshrrev_b32_e32 v18, 16, v3
	v_lshl_or_b32 v16, v4, 12, v12
	s_delay_alu instid0(VALU_DEP_4) | instskip(NEXT) | instid1(VALU_DEP_4)
	v_or_b32_e32 v2, v26, v2
	s_or_b32 s0, s1, s0
	s_delay_alu instid0(VALU_DEP_3)
	v_mul_f16_e32 v17, v40, v18
	s_wait_alu 0xfffe
	v_add_co_ci_u32_e64 v23, s0, 0, v14, s0
	v_cmp_gt_i32_e64 s0, 1, v4
	v_mul_f64_e32 v[14:15], s[10:11], v[21:22]
	v_fmac_f16_e32 v17, v39, v3
	s_wait_alu 0xf1ff
	s_delay_alu instid0(VALU_DEP_3)
	v_cndmask_b32_e64 v2, v16, v2, s0
	v_add_co_u32 v8, s0, v8, s16
	s_wait_alu 0xf1ff
	v_add_co_ci_u32_e64 v9, s0, s17, v9, s0
	v_cmp_gt_i32_e64 s0, 31, v24
	v_and_or_b32 v6, 0x1ff, v7, v6
	v_and_b32_e32 v22, 7, v2
	v_cvt_f32_f16_e32 v16, v17
	v_lshrrev_b32_e32 v2, 2, v2
	s_wait_alu 0xf1ff
	v_cndmask_b32_e64 v21, 0x7c00, v23, s0
	v_cmp_ne_u32_e64 s0, 0, v19
	v_cmp_ne_u32_e64 s1, 0, v6
	v_cvt_f64_f32_e32 v[16:17], v16
	v_lshrrev_b32_e32 v23, 8, v7
	v_bfe_u32 v25, v7, 20, 11
	s_wait_alu 0xf1ff
	v_cndmask_b32_e64 v19, 0, 1, s0
	v_cmp_lt_i32_e64 s0, 5, v22
	v_cndmask_b32_e64 v6, 0, 1, s1
	v_cmp_eq_u32_e64 s1, 3, v22
	v_sub_nc_u32_e32 v22, 0x3f1, v25
	v_lshl_or_b32 v19, v19, 9, 0x7c00
	v_add_nc_u32_e32 v25, 0xfffffc10, v25
	v_and_or_b32 v6, 0xffe, v23, v6
	s_or_b32 s0, s1, s0
	v_med3_i32 v22, v22, 0, 13
	s_wait_alu 0xfffe
	v_add_co_ci_u32_e64 v2, s0, 0, v2, s0
	v_cmp_ne_u32_e64 s0, 0, v12
	v_or_b32_e32 v23, 0x1000, v6
	global_store_b32 v[8:9], v0, off
	s_wait_alu 0xf1ff
	v_cndmask_b32_e64 v12, 0, 1, s0
	v_cmp_eq_u32_e64 s0, 0x40f, v24
	v_and_or_b32 v14, 0x1ff, v15, v14
	v_mul_f16_e32 v24, v40, v3
	s_delay_alu instid0(VALU_DEP_4)
	v_lshl_or_b32 v12, v12, 9, 0x7c00
	s_wait_alu 0xf1ff
	v_cndmask_b32_e64 v19, v21, v19, s0
	v_cmp_gt_i32_e64 s0, 31, v4
	v_lshrrev_b32_e32 v21, v22, v23
	s_wait_alu 0xf1ff
	s_delay_alu instid0(VALU_DEP_2) | instskip(SKIP_2) | instid1(VALU_DEP_1)
	v_cndmask_b32_e64 v2, 0x7c00, v2, s0
	v_cmp_eq_u32_e64 s0, 0x40f, v4
	s_wait_alu 0xf1ff
	v_cndmask_b32_e64 v4, v2, v12, s0
	v_cmp_ne_u32_e64 s0, 0, v14
	v_lshlrev_b32_e32 v2, v22, v21
	v_lshrrev_b32_e32 v14, 8, v15
	v_bfe_u32 v22, v15, 20, 11
	v_lshrrev_b32_e32 v15, 16, v15
	s_wait_alu 0xf1ff
	v_cndmask_b32_e64 v12, 0, 1, s0
	v_cmp_ne_u32_e64 s0, v2, v23
	v_mul_f64_e32 v[2:3], s[10:11], v[16:17]
	v_fma_f16 v16, v39, v18, -v24
	s_delay_alu instid0(VALU_DEP_4)
	v_and_or_b32 v14, 0xffe, v14, v12
	v_sub_nc_u32_e32 v12, 0x3f1, v22
	s_wait_alu 0xf1ff
	v_cndmask_b32_e64 v23, 0, 1, s0
	v_cmp_gt_i32_e64 s0, 1, v25
	v_cvt_f32_f16_e32 v16, v16
	v_or_b32_e32 v17, 0x1000, v14
	v_med3_i32 v18, v12, 0, 13
	v_or_b32_e32 v12, v21, v23
	v_lshl_or_b32 v21, v25, 12, v6
	v_lshrrev_b32_e32 v23, 16, v13
	s_delay_alu instid0(VALU_DEP_4) | instskip(SKIP_1) | instid1(VALU_DEP_3)
	v_lshrrev_b32_e32 v24, v18, v17
	s_wait_alu 0xf1ff
	v_cndmask_b32_e64 v21, v21, v12, s0
	v_cvt_f64_f32_e32 v[12:13], v16
	v_and_or_b32 v0, 0x8000, v23, v4
	v_lshlrev_b32_e32 v18, v18, v24
	v_and_or_b32 v16, 0x8000, v20, v19
	v_and_b32_e32 v4, 7, v21
	v_lshrrev_b32_e32 v20, 16, v1
	s_delay_alu instid0(VALU_DEP_4) | instskip(SKIP_1) | instid1(VALU_DEP_4)
	v_cmp_ne_u32_e64 s0, v18, v17
	v_add_nc_u32_e32 v18, 0xfffffc10, v22
	v_cmp_eq_u32_e64 s1, 3, v4
	v_and_b32_e32 v16, 0xffff, v16
	s_wait_alu 0xf1ff
	v_cndmask_b32_e64 v17, 0, 1, s0
	v_cmp_lt_i32_e64 s0, 5, v4
	v_lshrrev_b32_e32 v4, 2, v21
	v_lshl_or_b32 v19, v18, 12, v14
	v_lshl_or_b32 v21, v0, 16, v16
	v_or_b32_e32 v17, v24, v17
	s_or_b32 s0, s1, s0
	s_wait_alu 0xfffe
	v_add_co_ci_u32_e64 v4, s0, 0, v4, s0
	v_cmp_gt_i32_e64 s0, 1, v18
	v_and_or_b32 v2, 0x1ff, v3, v2
	v_bfe_u32 v22, v3, 20, 11
	s_wait_alu 0xf1ff
	s_delay_alu instid0(VALU_DEP_3) | instskip(SKIP_3) | instid1(VALU_DEP_3)
	v_cndmask_b32_e64 v19, v19, v17, s0
	v_mul_f16_e32 v17, v38, v20
	v_cmp_gt_i32_e64 s0, 31, v25
	v_cmp_ne_u32_e64 s2, 0, v2
	v_fmac_f16_e32 v17, v37, v1
	s_wait_alu 0xf1ff
	s_delay_alu instid0(VALU_DEP_3)
	v_cndmask_b32_e64 v0, 0x7c00, v4, s0
	v_and_b32_e32 v4, 7, v19
	v_cmp_ne_u32_e64 s0, 0, v6
	v_lshrrev_b32_e32 v19, 2, v19
	v_cvt_f32_f16_e32 v16, v17
	v_cndmask_b32_e64 v2, 0, 1, s2
	v_cmp_eq_u32_e64 s1, 3, v4
	s_wait_alu 0xf1ff
	v_cndmask_b32_e64 v6, 0, 1, s0
	v_cmp_lt_i32_e64 s0, 5, v4
	v_cvt_f64_f32_e32 v[16:17], v16
	v_lshrrev_b32_e32 v4, 8, v3
	v_mul_f64_e32 v[12:13], s[10:11], v[12:13]
	v_lshl_or_b32 v6, v6, 9, 0x7c00
	s_or_b32 s0, s1, s0
	s_wait_alu 0xfffe
	v_add_co_ci_u32_e64 v19, s0, 0, v19, s0
	v_cmp_ne_u32_e64 s0, 0, v14
	v_and_or_b32 v2, 0xffe, v4, v2
	v_sub_nc_u32_e32 v4, 0x3f1, v22
	s_wait_alu 0xf1ff
	s_delay_alu instid0(VALU_DEP_3) | instskip(SKIP_3) | instid1(VALU_DEP_4)
	v_cndmask_b32_e64 v14, 0, 1, s0
	v_cmp_gt_i32_e64 s0, 31, v18
	v_or_b32_e32 v23, 0x1000, v2
	v_med3_i32 v4, v4, 0, 13
	v_lshl_or_b32 v14, v14, 9, 0x7c00
	s_wait_alu 0xf1ff
	v_cndmask_b32_e64 v19, 0x7c00, v19, s0
	v_cmp_eq_u32_e64 s0, 0x40f, v25
	v_lshrrev_b32_e32 v24, v4, v23
	v_lshrrev_b32_e32 v25, 16, v7
	s_wait_alu 0xf1ff
	s_delay_alu instid0(VALU_DEP_3) | instskip(SKIP_4) | instid1(VALU_DEP_3)
	v_cndmask_b32_e64 v0, v0, v6, s0
	v_cmp_eq_u32_e64 s0, 0x40f, v18
	v_lshlrev_b32_e32 v4, v4, v24
	v_add_nc_u32_e32 v18, 0xfffffc10, v22
	s_wait_alu 0xf1ff
	v_cndmask_b32_e64 v14, v19, v14, s0
	v_add_co_u32 v6, s0, v8, s16
	s_wait_alu 0xf1ff
	v_add_co_ci_u32_e64 v7, s0, s17, v9, s0
	v_cmp_ne_u32_e64 s0, v4, v23
	v_and_or_b32 v8, 0x8000, v25, v0
	v_and_or_b32 v4, 0x8000, v15, v14
	v_mul_f16_e32 v14, v38, v1
	v_lshl_or_b32 v15, v18, 12, v2
	s_wait_alu 0xf1ff
	v_cndmask_b32_e64 v0, 0, 1, s0
	s_movk_i32 s0, 0xfc0c
	s_mov_b32 s1, -1
	v_and_or_b32 v12, 0x1ff, v13, v12
	s_wait_alu 0xfffe
	s_mul_u64 s[2:3], s[4:5], s[0:1]
	v_or_b32_e32 v9, v24, v0
	v_mul_f64_e32 v[0:1], s[10:11], v[16:17]
	v_fma_f16 v14, v37, v20, -v14
	v_cmp_gt_i32_e64 s0, 1, v18
	v_bfe_u32 v16, v13, 20, 11
	v_and_b32_e32 v17, 0xffff, v8
	v_lshrrev_b32_e32 v20, 16, v5
	s_wait_alu 0xfffe
	s_lshl_b64 s[4:5], s[2:3], 2
	v_cndmask_b32_e64 v15, v15, v9, s0
	v_cmp_ne_u32_e64 s0, 0, v12
	v_cvt_f32_f16_e32 v9, v14
	v_lshrrev_b32_e32 v14, 8, v13
	v_lshl_or_b32 v17, v4, 16, v17
	v_and_b32_e32 v19, 7, v15
	s_wait_alu 0xf1ff
	v_cndmask_b32_e64 v12, 0, 1, s0
	v_cvt_f64_f32_e32 v[8:9], v9
	v_lshrrev_b32_e32 v15, 2, v15
	v_mul_f16_e32 v22, v36, v20
	v_cmp_lt_i32_e64 s0, 5, v19
	v_and_or_b32 v12, 0xffe, v14, v12
	v_sub_nc_u32_e32 v14, 0x3f1, v16
	v_cmp_eq_u32_e64 s1, 3, v19
	v_fmac_f16_e32 v22, v35, v5
	v_add_nc_u32_e32 v16, 0xfffffc10, v16
	v_or_b32_e32 v4, 0x1000, v12
	v_med3_i32 v14, v14, 0, 13
	s_or_b32 s0, s1, s0
	v_mul_f16_e32 v5, v36, v5
	s_wait_alu 0xfffe
	v_add_co_ci_u32_e64 v15, s0, 0, v15, s0
	v_lshrrev_b32_e32 v19, v14, v4
	v_cmp_ne_u32_e64 s0, 0, v2
	v_lshl_or_b32 v25, v16, 12, v12
	v_fma_f16 v20, v35, v20, -v5
	v_lshrrev_b32_e32 v13, 16, v13
	v_lshlrev_b32_e32 v23, v14, v19
	s_wait_alu 0xf1ff
	v_cndmask_b32_e64 v2, 0, 1, s0
	v_cvt_f32_f16_e32 v14, v22
	v_cmp_gt_i32_e64 s0, 31, v18
	v_and_or_b32 v0, 0x1ff, v1, v0
	v_bfe_u32 v24, v1, 20, 11
	v_lshl_or_b32 v2, v2, 9, 0x7c00
	s_wait_alu 0xf1ff
	v_cndmask_b32_e64 v22, 0x7c00, v15, s0
	v_cvt_f64_f32_e32 v[14:15], v14
	v_cmp_ne_u32_e64 s0, v23, v4
	v_lshrrev_b32_e32 v23, 8, v1
	v_lshrrev_b32_e32 v1, 16, v1
	s_wait_alu 0xf1ff
	s_delay_alu instid0(VALU_DEP_3) | instskip(SKIP_1) | instid1(VALU_DEP_2)
	v_cndmask_b32_e64 v4, 0, 1, s0
	v_cmp_ne_u32_e64 s0, 0, v0
	v_or_b32_e32 v19, v19, v4
	s_wait_alu 0xf1ff
	s_delay_alu instid0(VALU_DEP_2)
	v_cndmask_b32_e64 v0, 0, 1, s0
	v_cmp_gt_i32_e64 s0, 1, v16
	v_mul_f64_e32 v[4:5], s[10:11], v[8:9]
	v_sub_nc_u32_e32 v8, 0x3f1, v24
	v_cvt_f32_f16_e32 v9, v20
	v_and_or_b32 v0, 0xffe, v23, v0
	s_wait_alu 0xf1ff
	v_cndmask_b32_e64 v19, v25, v19, s0
	v_cmp_eq_u32_e64 s0, 0x40f, v18
	v_med3_i32 v23, v8, 0, 13
	v_cvt_f64_f32_e32 v[8:9], v9
	v_or_b32_e32 v20, 0x1000, v0
	v_and_b32_e32 v25, 7, v19
	s_wait_alu 0xf1ff
	v_cndmask_b32_e64 v18, v22, v2, s0
	v_add_co_u32 v2, s0, v6, s4
	v_lshrrev_b32_e32 v26, v23, v20
	v_lshrrev_b32_e32 v22, 16, v3
	s_wait_alu 0xf1ff
	v_add_co_ci_u32_e64 v3, s0, s5, v7, s0
	v_cmp_lt_i32_e64 s0, 5, v25
	v_cmp_eq_u32_e64 s1, 3, v25
	v_lshrrev_b32_e32 v19, 2, v19
	v_lshlrev_b32_e32 v23, v23, v26
	v_and_or_b32 v18, 0x8000, v22, v18
	v_add_nc_u32_e32 v22, 0xfffffc10, v24
	s_or_b32 s0, s1, s0
	v_mul_f64_e32 v[14:15], s[10:11], v[14:15]
	s_wait_alu 0xfffe
	v_add_co_ci_u32_e64 v19, s0, 0, v19, s0
	v_cmp_ne_u32_e64 s2, v23, v20
	v_cmp_ne_u32_e64 s0, 0, v12
	v_lshl_or_b32 v23, v22, 12, v0
	s_wait_alu 0xf1ff
	s_delay_alu instid0(VALU_DEP_3) | instskip(NEXT) | instid1(VALU_DEP_3)
	v_cndmask_b32_e64 v20, 0, 1, s2
	v_cndmask_b32_e64 v12, 0, 1, s0
	v_cmp_gt_i32_e64 s0, 31, v16
	s_delay_alu instid0(VALU_DEP_3) | instskip(NEXT) | instid1(VALU_DEP_3)
	v_or_b32_e32 v20, v26, v20
	v_lshl_or_b32 v12, v12, 9, 0x7c00
	s_wait_alu 0xf1ff
	s_delay_alu instid0(VALU_DEP_3) | instskip(SKIP_3) | instid1(VALU_DEP_2)
	v_cndmask_b32_e64 v19, 0x7c00, v19, s0
	v_cmp_gt_i32_e64 s0, 1, v22
	v_and_or_b32 v4, 0x1ff, v5, v4
	s_wait_alu 0xf1ff
	v_cndmask_b32_e64 v20, v23, v20, s0
	v_cmp_eq_u32_e64 s0, 0x40f, v16
	v_mul_f64_e32 v[8:9], s[10:11], v[8:9]
	v_bfe_u32 v23, v5, 20, 11
	s_delay_alu instid0(VALU_DEP_4)
	v_and_b32_e32 v16, 7, v20
	s_wait_alu 0xf1ff
	v_cndmask_b32_e64 v12, v19, v12, s0
	v_cmp_ne_u32_e64 s0, 0, v4
	v_lshrrev_b32_e32 v19, 8, v5
	v_lshrrev_b32_e32 v5, 16, v5
	v_cmp_eq_u32_e64 s1, 3, v16
	v_and_or_b32 v12, 0x8000, v13, v12
	v_and_b32_e32 v13, 0xffff, v18
	s_wait_alu 0xf1ff
	v_cndmask_b32_e64 v4, 0, 1, s0
	v_cmp_lt_i32_e64 s0, 5, v16
	v_sub_nc_u32_e32 v18, 0x3f1, v23
	v_lshl_or_b32 v12, v12, 16, v13
	v_lshrrev_b32_e32 v13, 2, v20
	v_and_or_b32 v4, 0xffe, v19, v4
	s_or_b32 s0, s1, s0
	v_med3_i32 v18, v18, 0, 13
	v_and_or_b32 v14, 0x1ff, v15, v14
	s_wait_alu 0xfffe
	v_add_co_ci_u32_e64 v13, s0, 0, v13, s0
	v_or_b32_e32 v16, 0x1000, v4
	v_cmp_ne_u32_e64 s0, 0, v0
	v_lshrrev_b32_e32 v20, 8, v15
	v_bfe_u32 v24, v15, 20, 11
	s_delay_alu instid0(VALU_DEP_4) | instskip(SKIP_3) | instid1(VALU_DEP_3)
	v_lshrrev_b32_e32 v19, v18, v16
	s_wait_alu 0xf1ff
	v_cndmask_b32_e64 v0, 0, 1, s0
	v_cmp_gt_i32_e64 s0, 31, v22
	v_lshlrev_b32_e32 v18, v18, v19
	s_delay_alu instid0(VALU_DEP_3) | instskip(SKIP_1) | instid1(VALU_DEP_3)
	v_lshl_or_b32 v0, v0, 9, 0x7c00
	s_wait_alu 0xf1ff
	v_cndmask_b32_e64 v13, 0x7c00, v13, s0
	v_cmp_ne_u32_e64 s0, 0, v14
	v_and_or_b32 v8, 0x1ff, v9, v8
	s_wait_alu 0xf1ff
	s_delay_alu instid0(VALU_DEP_2) | instskip(SKIP_3) | instid1(VALU_DEP_4)
	v_cndmask_b32_e64 v14, 0, 1, s0
	v_cmp_ne_u32_e64 s0, v18, v16
	v_add_nc_u32_e32 v18, 0xfffffc10, v23
	v_bfe_u32 v23, v9, 20, 11
	v_and_or_b32 v14, 0xffe, v20, v14
	s_wait_alu 0xf1ff
	v_cndmask_b32_e64 v16, 0, 1, s0
	v_sub_nc_u32_e32 v20, 0x3f1, v24
	v_cmp_eq_u32_e64 s0, 0x40f, v22
	v_lshrrev_b32_e32 v22, 8, v9
	s_delay_alu instid0(VALU_DEP_3) | instskip(SKIP_1) | instid1(VALU_DEP_3)
	v_med3_i32 v20, v20, 0, 13
	s_wait_alu 0xf1ff
	v_cndmask_b32_e64 v0, v13, v0, s0
	v_or_b32_e32 v13, v19, v16
	v_lshl_or_b32 v16, v18, 12, v4
	v_or_b32_e32 v19, 0x1000, v14
	v_cmp_gt_i32_e64 s0, 1, v18
	v_and_or_b32 v0, 0x8000, v1, v0
	s_wait_alu 0xf1ff
	s_delay_alu instid0(VALU_DEP_2) | instskip(SKIP_3) | instid1(VALU_DEP_4)
	v_cndmask_b32_e64 v13, v16, v13, s0
	v_lshrrev_b32_e32 v16, v20, v19
	v_cmp_ne_u32_e64 s0, 0, v8
	v_and_b32_e32 v0, 0xffff, v0
	v_and_b32_e32 v25, 7, v13
	s_delay_alu instid0(VALU_DEP_4)
	v_lshlrev_b32_e32 v20, v20, v16
	s_wait_alu 0xf1ff
	v_cndmask_b32_e64 v8, 0, 1, s0
	v_lshrrev_b32_e32 v13, 2, v13
	v_cmp_lt_i32_e64 s0, 5, v25
	v_cmp_ne_u32_e64 s1, v20, v19
	s_delay_alu instid0(VALU_DEP_4)
	v_and_or_b32 v1, 0xffe, v22, v8
	v_sub_nc_u32_e32 v8, 0x3f1, v23
	v_add_nc_u32_e32 v22, 0xfffffc10, v24
	s_wait_alu 0xf1ff
	v_cndmask_b32_e64 v19, 0, 1, s1
	v_cmp_eq_u32_e64 s1, 3, v25
	v_or_b32_e32 v20, 0x1000, v1
	v_med3_i32 v8, v8, 0, 13
	v_lshl_or_b32 v24, v22, 12, v14
	v_or_b32_e32 v16, v16, v19
	s_or_b32 s0, s1, s0
	s_wait_alu 0xfffe
	v_add_co_ci_u32_e64 v13, s0, 0, v13, s0
	v_lshrrev_b32_e32 v19, v8, v20
	v_cmp_gt_i32_e64 s0, 1, v22
	s_delay_alu instid0(VALU_DEP_2) | instskip(SKIP_1) | instid1(VALU_DEP_2)
	v_lshlrev_b32_e32 v8, v8, v19
	s_wait_alu 0xf1ff
	v_cndmask_b32_e64 v16, v24, v16, s0
	v_cmp_ne_u32_e64 s0, 0, v4
	s_wait_alu 0xf1ff
	s_delay_alu instid0(VALU_DEP_1) | instskip(SKIP_3) | instid1(VALU_DEP_4)
	v_cndmask_b32_e64 v4, 0, 1, s0
	v_cmp_ne_u32_e64 s0, v8, v20
	v_add_nc_u32_e32 v20, 0xfffffc10, v23
	v_and_b32_e32 v23, 7, v16
	v_lshl_or_b32 v4, v4, 9, 0x7c00
	s_wait_alu 0xf1ff
	v_cndmask_b32_e64 v8, 0, 1, s0
	v_cmp_gt_i32_e64 s0, 31, v18
	v_cmp_gt_i32_e64 s2, 1, v20
	v_cmp_eq_u32_e64 s1, 3, v23
	s_delay_alu instid0(VALU_DEP_4) | instskip(SKIP_4) | instid1(VALU_DEP_3)
	v_or_b32_e32 v8, v19, v8
	v_lshl_or_b32 v19, v20, 12, v1
	s_wait_alu 0xf1ff
	v_cndmask_b32_e64 v13, 0x7c00, v13, s0
	v_cmp_lt_i32_e64 s0, 5, v23
	v_cndmask_b32_e64 v8, v19, v8, s2
	v_cmp_eq_u32_e64 s2, 0x40f, v18
	s_delay_alu instid0(VALU_DEP_3) | instskip(NEXT) | instid1(VALU_DEP_1)
	s_or_b32 s0, s1, s0
	v_cndmask_b32_e64 v4, v13, v4, s2
	v_lshrrev_b32_e32 v13, 2, v16
	v_and_b32_e32 v16, 7, v8
	v_lshrrev_b32_e32 v8, 2, v8
	v_cmp_gt_i32_e64 s2, 31, v22
	s_wait_alu 0xfffe
	v_add_co_ci_u32_e64 v13, s0, 0, v13, s0
	v_cmp_ne_u32_e64 s0, 0, v14
	v_cmp_eq_u32_e64 s1, 3, v16
	s_wait_alu 0xf1ff
	s_delay_alu instid0(VALU_DEP_3) | instskip(NEXT) | instid1(VALU_DEP_3)
	v_cndmask_b32_e64 v13, 0x7c00, v13, s2
	v_cndmask_b32_e64 v14, 0, 1, s0
	v_cmp_lt_i32_e64 s0, 5, v16
	s_delay_alu instid0(VALU_DEP_2) | instskip(NEXT) | instid1(VALU_DEP_2)
	v_lshl_or_b32 v14, v14, 9, 0x7c00
	s_or_b32 s0, s1, s0
	s_wait_alu 0xfffe
	v_add_co_ci_u32_e64 v8, s0, 0, v8, s0
	v_cmp_ne_u32_e64 s0, 0, v1
	s_wait_alu 0xf1ff
	s_delay_alu instid0(VALU_DEP_1) | instskip(SKIP_1) | instid1(VALU_DEP_2)
	v_cndmask_b32_e64 v1, 0, 1, s0
	v_cmp_eq_u32_e64 s0, 0x40f, v22
	v_lshl_or_b32 v1, v1, 9, 0x7c00
	s_wait_alu 0xf1ff
	s_delay_alu instid0(VALU_DEP_2) | instskip(SKIP_4) | instid1(VALU_DEP_3)
	v_cndmask_b32_e64 v13, v13, v14, s0
	v_cmp_gt_i32_e64 s0, 31, v20
	v_lshrrev_b32_e32 v14, 16, v15
	v_and_or_b32 v15, 0x8000, v5, v4
	s_wait_alu 0xf1ff
	v_cndmask_b32_e64 v8, 0x7c00, v8, s0
	v_cmp_eq_u32_e64 s0, 0x40f, v20
	v_and_or_b32 v13, 0x8000, v14, v13
	v_lshl_or_b32 v14, v15, 16, v0
	s_wait_alu 0xf1ff
	s_delay_alu instid0(VALU_DEP_3) | instskip(SKIP_4) | instid1(VALU_DEP_3)
	v_cndmask_b32_e64 v1, v8, v1, s0
	v_lshrrev_b32_e32 v8, 16, v9
	v_add_co_u32 v4, s0, v2, s16
	s_wait_alu 0xf1ff
	v_add_co_ci_u32_e64 v5, s0, s17, v3, s0
	v_and_or_b32 v0, 0x8000, v8, v1
	v_and_b32_e32 v1, 0xffff, v13
	v_add_co_u32 v8, s0, v4, s16
	s_wait_alu 0xf1ff
	v_add_co_ci_u32_e64 v9, s0, s17, v5, s0
	s_delay_alu instid0(VALU_DEP_3) | instskip(NEXT) | instid1(VALU_DEP_3)
	v_lshl_or_b32 v13, v0, 16, v1
	v_add_co_u32 v0, s0, v8, s16
	s_wait_alu 0xf1ff
	s_delay_alu instid0(VALU_DEP_3)
	v_add_co_ci_u32_e64 v1, s0, s17, v9, s0
	s_clause 0x1
	global_store_b32 v[6:7], v21, off
	global_store_b32 v[2:3], v17, off
	;; [unrolled: 1-line block ×5, first 2 shown]
	s_and_b32 exec_lo, exec_lo, vcc_lo
	s_cbranch_execz .LBB0_39
; %bb.38:
	s_clause 0x3
	global_load_b32 v2, v[10:11], off offset:1408
	global_load_b32 v4, v[10:11], off offset:2992
	;; [unrolled: 1-line block ×4, first 2 shown]
	ds_load_b32 v3, v34 offset:1408
	ds_load_b32 v5, v34 offset:2992
	;; [unrolled: 1-line block ×4, first 2 shown]
	v_add_co_u32 v0, vcc_lo, v0, s4
	s_wait_alu 0xfffd
	v_add_co_ci_u32_e32 v1, vcc_lo, s5, v1, vcc_lo
	s_wait_dscnt 0x3
	v_lshrrev_b32_e32 v7, 16, v3
	s_wait_dscnt 0x2
	v_lshrrev_b32_e32 v11, 16, v5
	;; [unrolled: 2-line block ×4, first 2 shown]
	s_wait_loadcnt 0x3
	v_lshrrev_b32_e32 v9, 16, v2
	s_wait_loadcnt 0x2
	v_lshrrev_b32_e32 v16, 16, v4
	;; [unrolled: 2-line block ×4, first 2 shown]
	v_mul_f16_e32 v13, v7, v9
	v_mul_f16_e32 v9, v3, v9
	;; [unrolled: 1-line block ×3, first 2 shown]
	s_delay_alu instid0(VALU_DEP_3) | instskip(NEXT) | instid1(VALU_DEP_3)
	v_fmac_f16_e32 v13, v3, v2
	v_fma_f16 v2, v2, v7, -v9
	v_mul_f16_e32 v7, v5, v16
	s_delay_alu instid0(VALU_DEP_4)
	v_fmac_f16_e32 v19, v5, v4
	v_mul_f16_e32 v9, v14, v17
	v_cvt_f32_f16_e32 v3, v13
	v_cvt_f32_f16_e32 v5, v2
	v_fma_f16 v7, v4, v11, -v7
	v_cvt_f32_f16_e32 v11, v19
	v_mul_f16_e32 v13, v6, v17
	v_cvt_f64_f32_e32 v[2:3], v3
	v_cvt_f64_f32_e32 v[4:5], v5
	v_fmac_f16_e32 v9, v6, v8
	v_cvt_f32_f16_e32 v17, v7
	v_cvt_f64_f32_e32 v[6:7], v11
	v_mul_f16_e32 v16, v15, v18
	v_fma_f16 v11, v8, v14, -v13
	v_cvt_f32_f16_e32 v13, v9
	v_cvt_f64_f32_e32 v[8:9], v17
	v_mul_f16_e32 v18, v10, v18
	v_fmac_f16_e32 v16, v10, v12
	v_cvt_f32_f16_e32 v14, v11
	v_cvt_f64_f32_e32 v[10:11], v13
	s_delay_alu instid0(VALU_DEP_4) | instskip(NEXT) | instid1(VALU_DEP_4)
	v_fma_f16 v15, v12, v15, -v18
	v_cvt_f32_f16_e32 v16, v16
	s_delay_alu instid0(VALU_DEP_4) | instskip(SKIP_1) | instid1(VALU_DEP_4)
	v_cvt_f64_f32_e32 v[12:13], v14
	v_add_co_u32 v18, vcc_lo, v0, s16
	v_cvt_f32_f16_e32 v17, v15
	s_delay_alu instid0(VALU_DEP_4)
	v_cvt_f64_f32_e32 v[14:15], v16
	s_wait_alu 0xfffd
	v_add_co_ci_u32_e32 v19, vcc_lo, s17, v1, vcc_lo
	v_add_co_u32 v20, vcc_lo, v18, s16
	v_cvt_f64_f32_e32 v[16:17], v17
	s_wait_alu 0xfffd
	s_delay_alu instid0(VALU_DEP_3)
	v_add_co_ci_u32_e32 v21, vcc_lo, s17, v19, vcc_lo
	v_mul_f64_e32 v[2:3], s[10:11], v[2:3]
	v_mul_f64_e32 v[4:5], s[10:11], v[4:5]
	;; [unrolled: 1-line block ×8, first 2 shown]
	v_and_or_b32 v2, 0x1ff, v3, v2
	v_and_or_b32 v4, 0x1ff, v5, v4
	v_lshrrev_b32_e32 v22, 8, v3
	v_bfe_u32 v23, v3, 20, 11
	v_and_or_b32 v6, 0x1ff, v7, v6
	v_cmp_ne_u32_e32 vcc_lo, 0, v2
	v_lshrrev_b32_e32 v24, 8, v5
	v_bfe_u32 v25, v5, 20, 11
	v_and_or_b32 v8, 0x1ff, v9, v8
	v_lshrrev_b32_e32 v26, 8, v7
	s_wait_alu 0xfffd
	v_cndmask_b32_e64 v2, 0, 1, vcc_lo
	v_cmp_ne_u32_e32 vcc_lo, 0, v4
	v_and_or_b32 v10, 0x1ff, v11, v10
	v_bfe_u32 v27, v7, 20, 11
	v_bfe_u32 v29, v9, 20, 11
	v_and_or_b32 v2, 0xffe, v22, v2
	s_wait_alu 0xfffd
	v_cndmask_b32_e64 v4, 0, 1, vcc_lo
	v_cmp_ne_u32_e32 vcc_lo, 0, v6
	v_and_or_b32 v12, 0x1ff, v13, v12
	v_sub_nc_u32_e32 v38, 0x3f1, v23
	v_and_or_b32 v14, 0x1ff, v15, v14
	v_add_nc_u32_e32 v23, 0xfffffc10, v23
	s_wait_alu 0xfffd
	v_cndmask_b32_e64 v6, 0, 1, vcc_lo
	v_cmp_ne_u32_e32 vcc_lo, 0, v8
	v_sub_nc_u32_e32 v39, 0x3f1, v25
	v_and_or_b32 v16, 0x1ff, v17, v16
	v_and_or_b32 v4, 0xffe, v24, v4
	v_lshrrev_b32_e32 v28, 8, v9
	s_wait_alu 0xfffd
	v_cndmask_b32_e64 v8, 0, 1, vcc_lo
	v_cmp_ne_u32_e32 vcc_lo, 0, v10
	v_bfe_u32 v31, v11, 20, 11
	v_bfe_u32 v33, v13, 20, 11
	v_add_nc_u32_e32 v25, 0xfffffc10, v25
	v_sub_nc_u32_e32 v40, 0x3f1, v27
	s_wait_alu 0xfffd
	v_cndmask_b32_e64 v10, 0, 1, vcc_lo
	v_cmp_ne_u32_e32 vcc_lo, 0, v12
	v_sub_nc_u32_e32 v41, 0x3f1, v29
	v_med3_i32 v22, v38, 0, 13
	v_med3_i32 v24, v39, 0, 13
	v_and_or_b32 v6, 0xffe, v26, v6
	s_wait_alu 0xfffd
	v_cndmask_b32_e64 v12, 0, 1, vcc_lo
	v_cmp_ne_u32_e32 vcc_lo, 0, v14
	v_or_b32_e32 v38, 0x1000, v2
	v_lshl_or_b32 v39, v23, 12, v2
	v_lshrrev_b32_e32 v30, 8, v11
	v_lshrrev_b32_e32 v32, 8, v13
	s_wait_alu 0xfffd
	v_cndmask_b32_e64 v14, 0, 1, vcc_lo
	v_cmp_ne_u32_e32 vcc_lo, 0, v16
	v_bfe_u32 v35, v15, 20, 11
	v_bfe_u32 v37, v17, 20, 11
	v_add_nc_u32_e32 v27, 0xfffffc10, v27
	v_sub_nc_u32_e32 v42, 0x3f1, v31
	s_wait_alu 0xfffd
	v_cndmask_b32_e64 v16, 0, 1, vcc_lo
	v_cmp_ne_u32_e32 vcc_lo, 0, v2
	v_sub_nc_u32_e32 v43, 0x3f1, v33
	v_med3_i32 v26, v40, 0, 13
	v_and_or_b32 v8, 0xffe, v28, v8
	v_med3_i32 v28, v41, 0, 13
	s_wait_alu 0xfffd
	v_cndmask_b32_e64 v2, 0, 1, vcc_lo
	v_cmp_ne_u32_e32 vcc_lo, 0, v4
	v_or_b32_e32 v40, 0x1000, v4
	v_lshl_or_b32 v41, v25, 12, v4
	v_lshrrev_b32_e32 v34, 8, v15
	v_lshrrev_b32_e32 v36, 8, v17
	s_wait_alu 0xfffd
	v_cndmask_b32_e64 v4, 0, 1, vcc_lo
	v_cmp_ne_u32_e32 vcc_lo, 0, v6
	v_add_nc_u32_e32 v29, 0xfffffc10, v29
	v_sub_nc_u32_e32 v44, 0x3f1, v35
	v_sub_nc_u32_e32 v45, 0x3f1, v37
	v_and_or_b32 v10, 0xffe, v30, v10
	v_med3_i32 v30, v42, 0, 13
	v_and_or_b32 v12, 0xffe, v32, v12
	v_med3_i32 v32, v43, 0, 13
	v_or_b32_e32 v42, 0x1000, v6
	v_lshl_or_b32 v43, v27, 12, v6
	s_wait_alu 0xfffd
	v_cndmask_b32_e64 v6, 0, 1, vcc_lo
	v_cmp_ne_u32_e32 vcc_lo, 0, v8
	v_add_nc_u32_e32 v31, 0xfffffc10, v31
	v_and_or_b32 v14, 0xffe, v34, v14
	v_med3_i32 v34, v44, 0, 13
	v_and_or_b32 v16, 0xffe, v36, v16
	v_med3_i32 v36, v45, 0, 13
	v_or_b32_e32 v44, 0x1000, v8
	v_lshl_or_b32 v45, v29, 12, v8
	s_wait_alu 0xfffd
	v_cndmask_b32_e64 v8, 0, 1, vcc_lo
	v_cmp_ne_u32_e32 vcc_lo, 0, v10
	v_add_nc_u32_e32 v33, 0xfffffc10, v33
	v_or_b32_e32 v46, 0x1000, v10
	v_lshl_or_b32 v47, v31, 12, v10
	v_add_nc_u32_e32 v35, 0xfffffc10, v35
	s_wait_alu 0xfffd
	v_cndmask_b32_e64 v10, 0, 1, vcc_lo
	v_cmp_ne_u32_e32 vcc_lo, 0, v12
	v_or_b32_e32 v48, 0x1000, v12
	v_lshl_or_b32 v49, v33, 12, v12
	v_lshrrev_b32_e32 v54, v22, v38
	v_add_nc_u32_e32 v37, 0xfffffc10, v37
	s_wait_alu 0xfffd
	v_cndmask_b32_e64 v12, 0, 1, vcc_lo
	v_cmp_ne_u32_e32 vcc_lo, 0, v14
	v_or_b32_e32 v50, 0x1000, v14
	v_lshl_or_b32 v51, v35, 12, v14
	v_lshrrev_b32_e32 v55, v24, v40
	v_lshlrev_b32_e32 v22, v22, v54
	s_wait_alu 0xfffd
	v_cndmask_b32_e64 v14, 0, 1, vcc_lo
	v_cmp_ne_u32_e32 vcc_lo, 0, v16
	v_or_b32_e32 v52, 0x1000, v16
	v_lshl_or_b32 v53, v37, 12, v16
	v_lshrrev_b32_e32 v56, v26, v42
	v_lshlrev_b32_e32 v24, v24, v55
	s_wait_alu 0xfffd
	v_cndmask_b32_e64 v16, 0, 1, vcc_lo
	v_cmp_ne_u32_e32 vcc_lo, v22, v38
	v_lshrrev_b32_e32 v57, v28, v44
	v_lshlrev_b32_e32 v26, v26, v56
	v_lshrrev_b32_e32 v58, v30, v46
	v_lshrrev_b32_e32 v59, v32, v48
	s_wait_alu 0xfffd
	v_cndmask_b32_e64 v22, 0, 1, vcc_lo
	v_cmp_ne_u32_e32 vcc_lo, v24, v40
	v_lshlrev_b32_e32 v28, v28, v57
	v_lshlrev_b32_e32 v30, v30, v58
	v_lshrrev_b32_e32 v60, v34, v50
	v_lshlrev_b32_e32 v32, v32, v59
	s_wait_alu 0xfffd
	v_cndmask_b32_e64 v24, 0, 1, vcc_lo
	v_cmp_ne_u32_e32 vcc_lo, v26, v42
	v_lshrrev_b32_e32 v61, v36, v52
	v_lshlrev_b32_e32 v34, v34, v60
	v_or_b32_e32 v22, v54, v22
	v_or_b32_e32 v24, v55, v24
	s_wait_alu 0xfffd
	v_cndmask_b32_e64 v26, 0, 1, vcc_lo
	v_cmp_ne_u32_e32 vcc_lo, v28, v44
	v_lshlrev_b32_e32 v36, v36, v61
	v_lshl_or_b32 v2, v2, 9, 0x7c00
	v_lshl_or_b32 v4, v4, 9, 0x7c00
	v_or_b32_e32 v26, v56, v26
	s_wait_alu 0xfffd
	v_cndmask_b32_e64 v28, 0, 1, vcc_lo
	v_cmp_ne_u32_e32 vcc_lo, v30, v46
	v_lshl_or_b32 v6, v6, 9, 0x7c00
	v_lshl_or_b32 v8, v8, 9, 0x7c00
	;; [unrolled: 1-line block ×3, first 2 shown]
	v_or_b32_e32 v28, v57, v28
	s_wait_alu 0xfffd
	v_cndmask_b32_e64 v30, 0, 1, vcc_lo
	v_cmp_ne_u32_e32 vcc_lo, v32, v48
	v_lshl_or_b32 v12, v12, 9, 0x7c00
	v_lshl_or_b32 v14, v14, 9, 0x7c00
	v_lshrrev_b32_e32 v3, 16, v3
	v_or_b32_e32 v30, v58, v30
	s_wait_alu 0xfffd
	v_cndmask_b32_e64 v32, 0, 1, vcc_lo
	v_cmp_ne_u32_e32 vcc_lo, v34, v50
	v_lshrrev_b32_e32 v7, 16, v7
	v_lshrrev_b32_e32 v11, 16, v11
	v_lshrrev_b32_e32 v5, 16, v5
	v_or_b32_e32 v32, v59, v32
	s_wait_alu 0xfffd
	v_cndmask_b32_e64 v34, 0, 1, vcc_lo
	v_cmp_ne_u32_e32 vcc_lo, v36, v52
	v_lshrrev_b32_e32 v9, 16, v9
	v_lshrrev_b32_e32 v15, 16, v15
	v_lshl_or_b32 v16, v16, 9, 0x7c00
	v_or_b32_e32 v34, v60, v34
	s_wait_alu 0xfffd
	v_cndmask_b32_e64 v36, 0, 1, vcc_lo
	v_cmp_gt_i32_e32 vcc_lo, 1, v23
	v_lshrrev_b32_e32 v13, 16, v13
	v_lshrrev_b32_e32 v17, 16, v17
	s_delay_alu instid0(VALU_DEP_4) | instskip(SKIP_3) | instid1(VALU_DEP_2)
	v_or_b32_e32 v36, v61, v36
	s_wait_alu 0xfffd
	v_cndmask_b32_e32 v22, v39, v22, vcc_lo
	v_cmp_gt_i32_e32 vcc_lo, 1, v25
	v_and_b32_e32 v38, 7, v22
	s_wait_alu 0xfffd
	v_cndmask_b32_e32 v24, v41, v24, vcc_lo
	v_cmp_gt_i32_e32 vcc_lo, 1, v27
	v_lshrrev_b32_e32 v22, 2, v22
	v_cmp_eq_u32_e64 s0, 3, v38
	s_wait_alu 0xfffd
	v_cndmask_b32_e32 v26, v43, v26, vcc_lo
	v_cmp_gt_i32_e32 vcc_lo, 1, v29
	s_delay_alu instid0(VALU_DEP_2)
	v_and_b32_e32 v40, 7, v26
	s_wait_alu 0xfffd
	v_cndmask_b32_e32 v28, v45, v28, vcc_lo
	v_cmp_gt_i32_e32 vcc_lo, 1, v31
	v_lshrrev_b32_e32 v26, 2, v26
	v_cmp_lt_i32_e64 s3, 5, v40
	v_cmp_eq_u32_e64 s4, 3, v40
	s_wait_alu 0xfffd
	v_cndmask_b32_e32 v30, v47, v30, vcc_lo
	v_cmp_gt_i32_e32 vcc_lo, 1, v33
	s_delay_alu instid0(VALU_DEP_2)
	v_and_b32_e32 v42, 7, v30
	s_wait_alu 0xfffd
	v_cndmask_b32_e32 v32, v49, v32, vcc_lo
	v_cmp_gt_i32_e32 vcc_lo, 1, v35
	v_lshrrev_b32_e32 v30, 2, v30
	v_cmp_lt_i32_e64 s7, 5, v42
	v_cmp_eq_u32_e64 s8, 3, v42
	s_wait_alu 0xfffd
	v_cndmask_b32_e32 v34, v51, v34, vcc_lo
	v_cmp_gt_i32_e32 vcc_lo, 1, v37
	s_delay_alu instid0(VALU_DEP_2)
	v_and_b32_e32 v44, 7, v34
	s_wait_alu 0xfffd
	v_cndmask_b32_e32 v36, v53, v36, vcc_lo
	v_cmp_lt_i32_e32 vcc_lo, 5, v38
	v_lshrrev_b32_e32 v34, 2, v34
	v_cmp_lt_i32_e64 s11, 5, v44
	v_cmp_eq_u32_e64 s12, 3, v44
	s_or_b32 vcc_lo, s0, vcc_lo
	s_wait_alu 0xfffe
	v_add_co_ci_u32_e32 v22, vcc_lo, 0, v22, vcc_lo
	v_and_b32_e32 v39, 7, v24
	v_lshrrev_b32_e32 v24, 2, v24
	s_delay_alu instid0(VALU_DEP_2) | instskip(SKIP_1) | instid1(VALU_DEP_1)
	v_cmp_lt_i32_e64 s1, 5, v39
	v_cmp_eq_u32_e64 s2, 3, v39
	s_or_b32 vcc_lo, s2, s1
	s_wait_alu 0xfffe
	v_add_co_ci_u32_e32 v24, vcc_lo, 0, v24, vcc_lo
	s_or_b32 vcc_lo, s4, s3
	s_wait_alu 0xfffe
	v_add_co_ci_u32_e32 v26, vcc_lo, 0, v26, vcc_lo
	v_and_b32_e32 v41, 7, v28
	v_lshrrev_b32_e32 v28, 2, v28
	s_delay_alu instid0(VALU_DEP_2) | instskip(SKIP_1) | instid1(VALU_DEP_1)
	v_cmp_lt_i32_e64 s5, 5, v41
	v_cmp_eq_u32_e64 s6, 3, v41
	s_or_b32 vcc_lo, s6, s5
	s_wait_alu 0xfffe
	v_add_co_ci_u32_e32 v28, vcc_lo, 0, v28, vcc_lo
	s_or_b32 vcc_lo, s8, s7
	;; [unrolled: 11-line block ×3, first 2 shown]
	s_wait_alu 0xfffe
	v_add_co_ci_u32_e32 v34, vcc_lo, 0, v34, vcc_lo
	v_and_b32_e32 v45, 7, v36
	v_lshrrev_b32_e32 v36, 2, v36
	s_delay_alu instid0(VALU_DEP_2) | instskip(SKIP_1) | instid1(VALU_DEP_1)
	v_cmp_lt_i32_e64 s13, 5, v45
	v_cmp_eq_u32_e64 s14, 3, v45
	s_or_b32 vcc_lo, s14, s13
	s_wait_alu 0xfffe
	v_add_co_ci_u32_e32 v36, vcc_lo, 0, v36, vcc_lo
	v_cmp_gt_i32_e32 vcc_lo, 31, v23
	s_wait_alu 0xfffd
	v_cndmask_b32_e32 v22, 0x7c00, v22, vcc_lo
	v_cmp_gt_i32_e32 vcc_lo, 31, v25
	s_wait_alu 0xfffd
	v_cndmask_b32_e32 v24, 0x7c00, v24, vcc_lo
	;; [unrolled: 3-line block ×8, first 2 shown]
	v_cmp_eq_u32_e32 vcc_lo, 0x40f, v23
	s_wait_alu 0xfffd
	v_cndmask_b32_e32 v2, v22, v2, vcc_lo
	v_cmp_eq_u32_e32 vcc_lo, 0x40f, v25
	s_delay_alu instid0(VALU_DEP_2) | instskip(SKIP_3) | instid1(VALU_DEP_2)
	v_and_or_b32 v2, 0x8000, v3, v2
	s_wait_alu 0xfffd
	v_cndmask_b32_e32 v4, v24, v4, vcc_lo
	v_cmp_eq_u32_e32 vcc_lo, 0x40f, v27
	v_and_or_b32 v4, 0x8000, v5, v4
	s_wait_alu 0xfffd
	v_cndmask_b32_e32 v6, v26, v6, vcc_lo
	v_cmp_eq_u32_e32 vcc_lo, 0x40f, v29
	s_delay_alu instid0(VALU_DEP_2) | instskip(SKIP_3) | instid1(VALU_DEP_2)
	v_and_or_b32 v3, 0x8000, v7, v6
	s_wait_alu 0xfffd
	v_cndmask_b32_e32 v8, v28, v8, vcc_lo
	v_cmp_eq_u32_e32 vcc_lo, 0x40f, v31
	v_and_or_b32 v5, 0x8000, v9, v8
	s_wait_alu 0xfffd
	v_cndmask_b32_e32 v10, v30, v10, vcc_lo
	v_cmp_eq_u32_e32 vcc_lo, 0x40f, v33
	s_delay_alu instid0(VALU_DEP_2)
	v_and_or_b32 v6, 0x8000, v11, v10
	s_wait_alu 0xfffd
	v_dual_cndmask_b32 v12, v32, v12 :: v_dual_and_b32 v11, 0xffff, v3
	v_cmp_eq_u32_e32 vcc_lo, 0x40f, v35
	v_and_b32_e32 v10, 0xffff, v2
	v_and_b32_e32 v6, 0xffff, v6
	s_delay_alu instid0(VALU_DEP_4)
	v_lshl_or_b32 v5, v5, 16, v11
	v_and_or_b32 v7, 0x8000, v13, v12
	s_wait_alu 0xfffd
	v_cndmask_b32_e32 v14, v34, v14, vcc_lo
	v_cmp_eq_u32_e32 vcc_lo, 0x40f, v37
	v_lshl_or_b32 v4, v4, 16, v10
	v_lshl_or_b32 v6, v7, 16, v6
	s_delay_alu instid0(VALU_DEP_4)
	v_and_or_b32 v8, 0x8000, v15, v14
	s_wait_alu 0xfffd
	v_cndmask_b32_e32 v16, v36, v16, vcc_lo
	v_add_co_u32 v2, vcc_lo, v20, s16
	s_wait_alu 0xfffd
	v_add_co_ci_u32_e32 v3, vcc_lo, s17, v21, vcc_lo
	s_delay_alu instid0(VALU_DEP_3) | instskip(SKIP_1) | instid1(VALU_DEP_1)
	v_and_or_b32 v9, 0x8000, v17, v16
	v_and_b32_e32 v8, 0xffff, v8
	v_lshl_or_b32 v7, v9, 16, v8
	global_store_b32 v[0:1], v4, off
	global_store_b32 v[18:19], v5, off
	global_store_b32 v[20:21], v6, off
	global_store_b32 v[2:3], v7, off
.LBB0_39:
	s_nop 0
	s_sendmsg sendmsg(MSG_DEALLOC_VGPRS)
	s_endpgm
	.section	.rodata,"a",@progbits
	.p2align	6, 0x0
	.amdhsa_kernel bluestein_single_fwd_len1584_dim1_half_op_CI_CI
		.amdhsa_group_segment_fixed_size 6336
		.amdhsa_private_segment_fixed_size 0
		.amdhsa_kernarg_size 104
		.amdhsa_user_sgpr_count 2
		.amdhsa_user_sgpr_dispatch_ptr 0
		.amdhsa_user_sgpr_queue_ptr 0
		.amdhsa_user_sgpr_kernarg_segment_ptr 1
		.amdhsa_user_sgpr_dispatch_id 0
		.amdhsa_user_sgpr_private_segment_size 0
		.amdhsa_wavefront_size32 1
		.amdhsa_uses_dynamic_stack 0
		.amdhsa_enable_private_segment 0
		.amdhsa_system_sgpr_workgroup_id_x 1
		.amdhsa_system_sgpr_workgroup_id_y 0
		.amdhsa_system_sgpr_workgroup_id_z 0
		.amdhsa_system_sgpr_workgroup_info 0
		.amdhsa_system_vgpr_workitem_id 0
		.amdhsa_next_free_vgpr 180
		.amdhsa_next_free_sgpr 18
		.amdhsa_reserve_vcc 1
		.amdhsa_float_round_mode_32 0
		.amdhsa_float_round_mode_16_64 0
		.amdhsa_float_denorm_mode_32 3
		.amdhsa_float_denorm_mode_16_64 3
		.amdhsa_fp16_overflow 0
		.amdhsa_workgroup_processor_mode 1
		.amdhsa_memory_ordered 1
		.amdhsa_forward_progress 0
		.amdhsa_round_robin_scheduling 0
		.amdhsa_exception_fp_ieee_invalid_op 0
		.amdhsa_exception_fp_denorm_src 0
		.amdhsa_exception_fp_ieee_div_zero 0
		.amdhsa_exception_fp_ieee_overflow 0
		.amdhsa_exception_fp_ieee_underflow 0
		.amdhsa_exception_fp_ieee_inexact 0
		.amdhsa_exception_int_div_zero 0
	.end_amdhsa_kernel
	.text
.Lfunc_end0:
	.size	bluestein_single_fwd_len1584_dim1_half_op_CI_CI, .Lfunc_end0-bluestein_single_fwd_len1584_dim1_half_op_CI_CI
                                        ; -- End function
	.section	.AMDGPU.csdata,"",@progbits
; Kernel info:
; codeLenInByte = 23276
; NumSgprs: 20
; NumVgprs: 180
; ScratchSize: 0
; MemoryBound: 0
; FloatMode: 240
; IeeeMode: 1
; LDSByteSize: 6336 bytes/workgroup (compile time only)
; SGPRBlocks: 2
; VGPRBlocks: 22
; NumSGPRsForWavesPerEU: 20
; NumVGPRsForWavesPerEU: 180
; Occupancy: 8
; WaveLimiterHint : 1
; COMPUTE_PGM_RSRC2:SCRATCH_EN: 0
; COMPUTE_PGM_RSRC2:USER_SGPR: 2
; COMPUTE_PGM_RSRC2:TRAP_HANDLER: 0
; COMPUTE_PGM_RSRC2:TGID_X_EN: 1
; COMPUTE_PGM_RSRC2:TGID_Y_EN: 0
; COMPUTE_PGM_RSRC2:TGID_Z_EN: 0
; COMPUTE_PGM_RSRC2:TIDIG_COMP_CNT: 0
	.text
	.p2alignl 7, 3214868480
	.fill 96, 4, 3214868480
	.type	__hip_cuid_3d13f6c8be18cd56,@object ; @__hip_cuid_3d13f6c8be18cd56
	.section	.bss,"aw",@nobits
	.globl	__hip_cuid_3d13f6c8be18cd56
__hip_cuid_3d13f6c8be18cd56:
	.byte	0                               ; 0x0
	.size	__hip_cuid_3d13f6c8be18cd56, 1

	.ident	"AMD clang version 19.0.0git (https://github.com/RadeonOpenCompute/llvm-project roc-6.4.0 25133 c7fe45cf4b819c5991fe208aaa96edf142730f1d)"
	.section	".note.GNU-stack","",@progbits
	.addrsig
	.addrsig_sym __hip_cuid_3d13f6c8be18cd56
	.amdgpu_metadata
---
amdhsa.kernels:
  - .args:
      - .actual_access:  read_only
        .address_space:  global
        .offset:         0
        .size:           8
        .value_kind:     global_buffer
      - .actual_access:  read_only
        .address_space:  global
        .offset:         8
        .size:           8
        .value_kind:     global_buffer
      - .actual_access:  read_only
        .address_space:  global
        .offset:         16
        .size:           8
        .value_kind:     global_buffer
      - .actual_access:  read_only
        .address_space:  global
        .offset:         24
        .size:           8
        .value_kind:     global_buffer
      - .actual_access:  read_only
        .address_space:  global
        .offset:         32
        .size:           8
        .value_kind:     global_buffer
      - .offset:         40
        .size:           8
        .value_kind:     by_value
      - .address_space:  global
        .offset:         48
        .size:           8
        .value_kind:     global_buffer
      - .address_space:  global
        .offset:         56
        .size:           8
        .value_kind:     global_buffer
      - .address_space:  global
        .offset:         64
        .size:           8
        .value_kind:     global_buffer
      - .address_space:  global
        .offset:         72
        .size:           8
        .value_kind:     global_buffer
      - .offset:         80
        .size:           4
        .value_kind:     by_value
      - .address_space:  global
        .offset:         88
        .size:           8
        .value_kind:     global_buffer
      - .address_space:  global
        .offset:         96
        .size:           8
        .value_kind:     global_buffer
    .group_segment_fixed_size: 6336
    .kernarg_segment_align: 8
    .kernarg_segment_size: 104
    .language:       OpenCL C
    .language_version:
      - 2
      - 0
    .max_flat_workgroup_size: 176
    .name:           bluestein_single_fwd_len1584_dim1_half_op_CI_CI
    .private_segment_fixed_size: 0
    .sgpr_count:     20
    .sgpr_spill_count: 0
    .symbol:         bluestein_single_fwd_len1584_dim1_half_op_CI_CI.kd
    .uniform_work_group_size: 1
    .uses_dynamic_stack: false
    .vgpr_count:     180
    .vgpr_spill_count: 0
    .wavefront_size: 32
    .workgroup_processor_mode: 1
amdhsa.target:   amdgcn-amd-amdhsa--gfx1201
amdhsa.version:
  - 1
  - 2
...

	.end_amdgpu_metadata
